;; amdgpu-corpus repo=ROCm/rocFFT kind=compiled arch=gfx906 opt=O3
	.text
	.amdgcn_target "amdgcn-amd-amdhsa--gfx906"
	.amdhsa_code_object_version 6
	.protected	bluestein_single_fwd_len17_dim1_sp_op_CI_CI ; -- Begin function bluestein_single_fwd_len17_dim1_sp_op_CI_CI
	.globl	bluestein_single_fwd_len17_dim1_sp_op_CI_CI
	.p2align	8
	.type	bluestein_single_fwd_len17_dim1_sp_op_CI_CI,@function
bluestein_single_fwd_len17_dim1_sp_op_CI_CI: ; @bluestein_single_fwd_len17_dim1_sp_op_CI_CI
; %bb.0:
	s_load_dwordx4 s[28:31], s[4:5], 0x28
	s_mulk_i32 s6, 0x78
	v_add_u32_e32 v12, s6, v0
	v_mov_b32_e32 v13, 0
	s_waitcnt lgkmcnt(0)
	v_cmp_gt_u64_e32 vcc, s[28:29], v[12:13]
	s_movk_i32 s28, 0x78
	s_and_saveexec_b64 s[0:1], vcc
	s_cbranch_execz .LBB0_2
; %bb.1:
	s_load_dwordx4 s[0:3], s[4:5], 0x18
	v_mov_b32_e32 v3, s31
	s_mov_b32 s29, 0xbf1a4643
	s_mov_b32 s31, 0xbf7ba420
	s_waitcnt lgkmcnt(0)
	s_load_dwordx4 s[24:27], s[0:1], 0x0
	s_load_dwordx2 s[6:7], s[4:5], 0x0
	s_mov_b32 s0, 0x88888889
	v_mul_hi_u32 v2, v12, s0
	s_load_dwordx2 s[4:5], s[4:5], 0x38
	s_waitcnt lgkmcnt(0)
	v_mad_u64_u32 v[0:1], s[0:1], s26, v12, 0
	v_lshrrev_b32_e32 v4, 6, v2
	v_mul_lo_u32 v46, v4, s28
	v_mad_u64_u32 v[1:2], s[0:1], s27, v12, v[1:2]
	s_lshl_b64 s[0:1], s[24:25], 3
	v_mov_b32_e32 v5, s1
	v_lshlrev_b64 v[0:1], 3, v[0:1]
	s_load_dwordx16 s[8:23], s[6:7], 0x0
	v_add_co_u32_e32 v0, vcc, s30, v0
	v_addc_co_u32_e32 v1, vcc, v3, v1, vcc
	v_mad_u64_u32 v[2:3], s[26:27], s24, 24, v[0:1]
	v_add_co_u32_e32 v4, vcc, s0, v0
	v_mad_u64_u32 v[6:7], s[26:27], s25, 24, v[3:4]
	v_addc_co_u32_e32 v5, vcc, v1, v5, vcc
	s_lshl_b64 s[0:1], s[24:25], 4
	v_mov_b32_e32 v8, s1
	v_add_co_u32_e32 v7, vcc, s0, v0
	v_addc_co_u32_e32 v8, vcc, v1, v8, vcc
	s_lshl_b64 s[0:1], s[24:25], 5
	v_mad_u64_u32 v[9:10], s[26:27], s24, 40, v[0:1]
	v_mov_b32_e32 v3, v6
	v_mov_b32_e32 v6, s1
	v_add_co_u32_e32 v13, vcc, s0, v0
	v_mad_u64_u32 v[17:18], s[0:1], s24, 48, v[0:1]
	v_addc_co_u32_e32 v14, vcc, v1, v6, vcc
	v_mov_b32_e32 v6, v10
	v_mad_u64_u32 v[10:11], s[0:1], s25, 40, v[6:7]
	v_mov_b32_e32 v6, v18
	global_load_dwordx2 v[2:3], v[2:3], off
	v_mad_u64_u32 v[21:22], s[0:1], s25, 48, v[6:7]
	global_load_dwordx2 v[4:5], v[4:5], off
	v_mad_u64_u32 v[19:20], s[0:1], s24, 56, v[0:1]
	global_load_dwordx2 v[7:8], v[7:8], off
	v_mov_b32_e32 v18, v21
	v_mov_b32_e32 v6, v20
	global_load_dwordx2 v[15:16], v[0:1], off
	s_mul_i32 s26, s25, 0x60
	global_load_dwordx2 v[13:14], v[13:14], off
	s_mov_b32 s28, 0x3f6eb680
	global_load_dwordx2 v[9:10], v[9:10], off
	s_mov_b32 s27, 0xbe8c1d8e
	s_mov_b32 s30, 0xbf59a7d5
	s_waitcnt vmcnt(3)
	v_mad_u64_u32 v[22:23], s[0:1], s25, 56, v[6:7]
	s_lshl_b64 s[0:1], s[24:25], 6
	v_mov_b32_e32 v23, 0x48
	v_mov_b32_e32 v6, s1
	v_add_co_u32_e32 v21, vcc, s0, v0
	v_mad_u64_u32 v[24:25], s[0:1], s24, v23, v[0:1]
	v_mov_b32_e32 v20, v22
	v_addc_co_u32_e32 v22, vcc, v1, v6, vcc
	s_mul_i32 s0, s25, 0x48
	global_load_dwordx2 v[26:27], v[21:22], off
	global_load_dwordx2 v[28:29], v[17:18], off
	v_add_u32_e32 v25, s0, v25
	global_load_dwordx2 v[30:31], v[19:20], off
	global_load_dwordx2 v[32:33], v[24:25], off
	v_mov_b32_e32 v24, 0x50
	v_mad_u64_u32 v[17:18], s[0:1], s24, v24, v[0:1]
	v_mov_b32_e32 v19, 0x58
	v_mad_u64_u32 v[34:35], s[0:1], s24, v19, v[0:1]
	s_mul_i32 s0, s25, 0x50
	v_add_u32_e32 v18, s0, v18
	s_mul_i32 s0, s25, 0x58
	v_add_u32_e32 v35, s0, v35
	v_mov_b32_e32 v21, 0x60
	v_mov_b32_e32 v20, 0x68
	v_mad_u64_u32 v[36:37], s[0:1], s24, v21, v[0:1]
	global_load_dwordx2 v[38:39], v[17:18], off
	v_add_u32_e32 v37, s26, v37
	global_load_dwordx2 v[34:35], v[34:35], off
	v_mad_u64_u32 v[17:18], s[0:1], s24, v20, v[0:1]
	s_mul_i32 s0, s25, 0x68
	s_mul_i32 s26, s25, 0x70
	v_add_u32_e32 v18, s0, v18
	global_load_dwordx2 v[40:41], v[36:37], off
	global_load_dwordx2 v[42:43], v[17:18], off
	v_mov_b32_e32 v18, 0x70
	v_mov_b32_e32 v17, 0x78
	v_mad_u64_u32 v[36:37], s[0:1], s24, v18, v[0:1]
	v_mad_u64_u32 v[44:45], s[0:1], s24, v17, v[0:1]
	s_mul_i32 s0, s25, 0x78
	v_add_u32_e32 v37, s26, v37
	v_add_u32_e32 v45, s0, v45
	s_lshl_b64 s[0:1], s[24:25], 7
	global_load_dwordx2 v[36:37], v[36:37], off
	v_mov_b32_e32 v6, s1
	global_load_dwordx2 v[44:45], v[44:45], off
	v_add_co_u32_e32 v0, vcc, s0, v0
	v_addc_co_u32_e32 v1, vcc, v1, v6, vcc
	global_load_dwordx2 v[0:1], v[0:1], off
	v_sub_u32_e32 v6, v12, v46
	s_waitcnt vmcnt(13) lgkmcnt(0)
	v_mul_f32_e32 v46, s9, v16
	v_fmac_f32_e32 v46, s8, v15
	v_mul_u32_u24_e32 v22, 0x88, v6
	v_mul_f32_e32 v6, s9, v15
	v_mul_f32_e32 v15, s11, v5
	v_fma_f32 v47, v16, s8, -v6
	v_fmac_f32_e32 v15, s10, v4
	v_mul_f32_e32 v4, s11, v4
	v_mul_f32_e32 v6, s15, v3
	v_fma_f32 v16, v5, s10, -v4
	v_mul_f32_e32 v4, s13, v8
	v_mul_f32_e32 v5, s13, v7
	v_fmac_f32_e32 v6, s14, v2
	v_mul_f32_e32 v2, s15, v2
	v_fmac_f32_e32 v4, s12, v7
	v_fma_f32 v5, v8, s12, -v5
	v_fma_f32 v7, v3, s14, -v2
	s_load_dwordx16 s[36:51], s[6:7], 0x40
	ds_write2_b64 v22, v[4:5], v[6:7] offset0:2 offset1:3
	s_waitcnt vmcnt(12)
	v_mul_f32_e32 v2, s17, v14
	v_mul_f32_e32 v3, s17, v13
	s_waitcnt vmcnt(11)
	v_mul_f32_e32 v4, s19, v10
	v_mul_f32_e32 v5, s19, v9
	v_fmac_f32_e32 v2, s16, v13
	v_fma_f32 v3, v14, s16, -v3
	v_fmac_f32_e32 v4, s18, v9
	v_fma_f32 v5, v10, s18, -v5
	ds_write2_b64 v22, v[2:3], v[4:5] offset0:4 offset1:5
	s_load_dwordx16 s[52:67], s[6:7], 0x80
	ds_write2_b64 v22, v[46:47], v[15:16] offset1:1
	s_load_dwordx4 s[0:3], s[2:3], 0x0
	s_mov_b32 s26, 0x3f3d2fb0
	s_mov_b32 s25, 0x3ee437d1
	;; [unrolled: 1-line block ×3, first 2 shown]
	s_waitcnt vmcnt(9)
	v_mul_f32_e32 v2, s21, v29
	v_mul_f32_e32 v3, s21, v28
	s_waitcnt vmcnt(8)
	v_mul_f32_e32 v4, s23, v31
	v_mul_f32_e32 v5, s23, v30
	v_fmac_f32_e32 v2, s20, v28
	v_fma_f32 v3, v29, s20, -v3
	v_fmac_f32_e32 v4, s22, v30
	v_fma_f32 v5, v31, s22, -v5
	ds_write2_b64 v22, v[2:3], v[4:5] offset0:6 offset1:7
	s_waitcnt lgkmcnt(0)
	v_mul_f32_e32 v2, s37, v27
	v_mul_f32_e32 v3, s37, v26
	s_waitcnt vmcnt(7)
	v_mul_f32_e32 v4, s39, v33
	v_mul_f32_e32 v5, s39, v32
	v_fmac_f32_e32 v2, s36, v26
	v_fma_f32 v3, v27, s36, -v3
	v_fmac_f32_e32 v4, s38, v32
	v_fma_f32 v5, v33, s38, -v5
	ds_write2_b64 v22, v[2:3], v[4:5] offset0:8 offset1:9
	s_waitcnt vmcnt(6)
	v_mul_f32_e32 v2, s41, v39
	v_mul_f32_e32 v3, s41, v38
	s_waitcnt vmcnt(5)
	v_mul_f32_e32 v4, s43, v35
	v_mul_f32_e32 v5, s43, v34
	v_fmac_f32_e32 v2, s40, v38
	v_fma_f32 v3, v39, s40, -v3
	v_fmac_f32_e32 v4, s42, v34
	v_fma_f32 v5, v35, s42, -v5
	ds_write2_b64 v22, v[2:3], v[4:5] offset0:10 offset1:11
	s_waitcnt vmcnt(4)
	;; [unrolled: 11-line block ×4, first 2 shown]
	v_mul_f32_e32 v2, s53, v1
	v_fmac_f32_e32 v2, s52, v0
	v_mul_f32_e32 v0, s53, v0
	v_fma_f32 v3, v1, s52, -v0
	ds_write_b64 v22, v[2:3] offset:128
	s_waitcnt lgkmcnt(0)
	s_barrier
	ds_read2_b64 v[25:28], v22 offset1:1
	ds_read2_b64 v[29:32], v22 offset0:2 offset1:3
	ds_read2_b64 v[33:36], v22 offset0:4 offset1:5
	;; [unrolled: 1-line block ×7, first 2 shown]
	ds_read_b64 v[15:16], v22 offset:128
	s_waitcnt lgkmcnt(8)
	v_add_f32_e32 v13, v25, v27
	s_waitcnt lgkmcnt(7)
	v_add_f32_e32 v13, v13, v29
	v_add_f32_e32 v14, v26, v28
	v_add_f32_e32 v13, v13, v31
	v_add_f32_e32 v14, v14, v30
	s_waitcnt lgkmcnt(6)
	v_add_f32_e32 v13, v13, v33
	v_add_f32_e32 v14, v14, v32
	v_add_f32_e32 v13, v13, v35
	;; [unrolled: 5-line block ×7, first 2 shown]
	v_add_f32_e32 v14, v14, v42
	s_waitcnt lgkmcnt(0)
	v_add_f32_e32 v13, v13, v15
	v_add_f32_e32 v45, v15, v27
	v_sub_f32_e32 v15, v27, v15
	v_add_f32_e32 v14, v14, v44
	v_mul_f32_e32 v47, 0xbeb8f4ab, v15
	v_mul_f32_e32 v51, 0xbf2c7751, v15
	;; [unrolled: 1-line block ×8, first 2 shown]
	v_add_f32_e32 v14, v14, v16
	v_add_f32_e32 v46, v16, v28
	v_sub_f32_e32 v16, v28, v16
	v_mov_b32_e32 v74, v15
	v_mul_f32_e32 v27, 0xbeb8f4ab, v16
	v_fma_f32 v48, v46, s28, -v47
	v_fmac_f32_e32 v47, 0x3f6eb680, v46
	v_mul_f32_e32 v49, 0xbf2c7751, v16
	v_fma_f32 v52, v46, s26, -v51
	v_fmac_f32_e32 v51, 0x3f3d2fb0, v46
	;; [unrolled: 3-line block ×7, first 2 shown]
	v_mul_f32_e32 v16, 0xbe3c28d5, v16
	v_fmac_f32_e32 v74, 0xbf7ba420, v46
	v_fma_f32 v15, v46, s31, -v15
	v_fma_f32 v28, v45, s28, -v27
	v_add_f32_e32 v47, v26, v47
	v_fmac_f32_e32 v27, 0x3f6eb680, v45
	v_add_f32_e32 v48, v26, v48
	v_fma_f32 v50, v45, s26, -v49
	v_add_f32_e32 v51, v26, v51
	v_fmac_f32_e32 v49, 0x3f3d2fb0, v45
	v_add_f32_e32 v52, v26, v52
	;; [unrolled: 4-line block ×8, first 2 shown]
	v_add_f32_e32 v26, v44, v30
	v_sub_f32_e32 v30, v30, v44
	v_add_f32_e32 v28, v25, v28
	v_add_f32_e32 v27, v25, v27
	;; [unrolled: 1-line block ×17, first 2 shown]
	v_sub_f32_e32 v29, v29, v43
	v_mul_f32_e32 v43, 0xbf2c7751, v30
	v_fma_f32 v44, v25, s26, -v43
	v_add_f32_e32 v28, v44, v28
	v_mul_f32_e32 v44, 0xbf2c7751, v29
	v_fma_f32 v45, v26, s26, -v44
	v_fmac_f32_e32 v43, 0x3f3d2fb0, v25
	v_add_f32_e32 v27, v43, v27
	v_add_f32_e32 v43, v45, v48
	v_mul_f32_e32 v45, 0xbf7ee86f, v30
	v_fmac_f32_e32 v44, 0x3f3d2fb0, v26
	v_fma_f32 v46, v25, s24, -v45
	v_fmac_f32_e32 v45, 0x3dbcf732, v25
	v_add_f32_e32 v44, v44, v47
	v_mul_f32_e32 v47, 0xbf7ee86f, v29
	v_add_f32_e32 v45, v45, v49
	v_mul_f32_e32 v49, 0xbf4c4adb, v30
	v_add_f32_e32 v46, v46, v50
	v_fma_f32 v48, v26, s24, -v47
	v_fmac_f32_e32 v47, 0x3dbcf732, v26
	v_fma_f32 v50, v25, s29, -v49
	v_fmac_f32_e32 v49, 0xbf1a4643, v25
	v_add_f32_e32 v47, v47, v51
	v_mul_f32_e32 v51, 0xbf4c4adb, v29
	v_add_f32_e32 v49, v49, v53
	v_mul_f32_e32 v53, 0xbe3c28d5, v30
	v_add_f32_e32 v48, v48, v52
	v_add_f32_e32 v50, v50, v54
	v_fma_f32 v52, v26, s29, -v51
	v_fmac_f32_e32 v51, 0xbf1a4643, v26
	v_fma_f32 v54, v25, s31, -v53
	v_fmac_f32_e32 v53, 0xbf7ba420, v25
	v_add_f32_e32 v51, v51, v55
	v_mul_f32_e32 v55, 0xbe3c28d5, v29
	v_add_f32_e32 v53, v53, v57
	v_mul_f32_e32 v57, 0x3f06c442, v30
	v_add_f32_e32 v52, v52, v56
	;; [unrolled: 10-line block ×4, first 2 shown]
	v_add_f32_e32 v62, v62, v66
	v_fma_f32 v64, v26, s27, -v63
	v_fmac_f32_e32 v63, 0xbe8c1d8e, v26
	v_fma_f32 v66, v25, s25, -v65
	v_fmac_f32_e32 v65, 0x3ee437d1, v25
	v_mul_f32_e32 v30, 0x3eb8f4ab, v30
	v_add_f32_e32 v63, v63, v67
	v_mul_f32_e32 v67, 0x3f65296c, v29
	v_add_f32_e32 v65, v65, v69
	v_fma_f32 v69, v25, s28, -v30
	v_mul_f32_e32 v29, 0x3eb8f4ab, v29
	v_fmac_f32_e32 v30, 0x3f6eb680, v25
	v_add_f32_e32 v16, v30, v16
	v_fma_f32 v25, v26, s28, -v29
	v_sub_f32_e32 v30, v32, v42
	v_add_f32_e32 v66, v66, v70
	v_mov_b32_e32 v70, v29
	v_add_f32_e32 v15, v25, v15
	v_add_f32_e32 v25, v41, v31
	v_sub_f32_e32 v29, v31, v41
	v_mul_f32_e32 v31, 0xbf65296c, v30
	v_add_f32_e32 v64, v64, v68
	v_fma_f32 v68, v26, s25, -v67
	v_fmac_f32_e32 v67, 0x3ee437d1, v26
	v_fmac_f32_e32 v70, 0x3f6eb680, v26
	v_add_f32_e32 v26, v42, v32
	v_fma_f32 v32, v25, s25, -v31
	v_add_f32_e32 v28, v32, v28
	v_mul_f32_e32 v32, 0xbf65296c, v29
	v_fma_f32 v41, v26, s25, -v32
	v_fmac_f32_e32 v31, 0x3ee437d1, v25
	v_add_f32_e32 v27, v31, v27
	v_add_f32_e32 v31, v41, v43
	v_mul_f32_e32 v41, 0xbf4c4adb, v30
	v_fma_f32 v42, v25, s29, -v41
	v_fmac_f32_e32 v41, 0xbf1a4643, v25
	v_fmac_f32_e32 v32, 0x3ee437d1, v26
	v_mul_f32_e32 v43, 0xbf4c4adb, v29
	v_add_f32_e32 v41, v41, v45
	v_mul_f32_e32 v45, 0x3e3c28d5, v30
	v_add_f32_e32 v32, v32, v44
	v_add_f32_e32 v42, v42, v46
	v_fma_f32 v44, v26, s29, -v43
	v_fmac_f32_e32 v43, 0xbf1a4643, v26
	v_fma_f32 v46, v25, s31, -v45
	v_fmac_f32_e32 v45, 0xbf7ba420, v25
	v_add_f32_e32 v43, v43, v47
	v_mul_f32_e32 v47, 0x3e3c28d5, v29
	v_add_f32_e32 v45, v45, v49
	v_mul_f32_e32 v49, 0x3f763a35, v30
	v_add_f32_e32 v44, v44, v48
	v_add_f32_e32 v46, v46, v50
	v_fma_f32 v48, v26, s31, -v47
	v_fmac_f32_e32 v47, 0xbf7ba420, v26
	v_fma_f32 v50, v25, s27, -v49
	v_fmac_f32_e32 v49, 0xbe8c1d8e, v25
	v_add_f32_e32 v47, v47, v51
	;; [unrolled: 10-line block ×4, first 2 shown]
	v_mul_f32_e32 v59, 0xbeb8f4ab, v29
	v_add_f32_e32 v57, v57, v61
	v_mul_f32_e32 v61, 0xbf7ee86f, v30
	v_add_f32_e32 v56, v56, v60
	v_add_f32_e32 v58, v58, v62
	v_fma_f32 v60, v26, s28, -v59
	v_fmac_f32_e32 v59, 0x3f6eb680, v26
	v_fma_f32 v62, v25, s24, -v61
	v_fmac_f32_e32 v61, 0x3dbcf732, v25
	v_mul_f32_e32 v30, 0xbf06c442, v30
	v_add_f32_e32 v59, v59, v63
	v_mul_f32_e32 v63, 0xbf7ee86f, v29
	v_add_f32_e32 v61, v61, v65
	v_fma_f32 v65, v25, s30, -v30
	v_mul_f32_e32 v29, 0xbf06c442, v29
	v_fmac_f32_e32 v30, 0xbf59a7d5, v25
	v_add_f32_e32 v16, v30, v16
	v_fma_f32 v25, v26, s30, -v29
	v_sub_f32_e32 v30, v34, v40
	v_add_f32_e32 v62, v62, v66
	v_mov_b32_e32 v66, v29
	v_add_f32_e32 v15, v25, v15
	v_add_f32_e32 v25, v39, v33
	v_sub_f32_e32 v29, v33, v39
	v_mul_f32_e32 v33, 0xbf7ee86f, v30
	v_add_f32_e32 v60, v60, v64
	v_fma_f32 v64, v26, s24, -v63
	v_fmac_f32_e32 v63, 0x3dbcf732, v26
	v_fmac_f32_e32 v66, 0xbf59a7d5, v26
	v_add_f32_e32 v26, v40, v34
	v_fma_f32 v34, v25, s24, -v33
	v_add_f32_e32 v28, v34, v28
	v_mul_f32_e32 v34, 0xbf7ee86f, v29
	v_fmac_f32_e32 v33, 0x3dbcf732, v25
	v_fma_f32 v39, v26, s24, -v34
	v_fmac_f32_e32 v34, 0x3dbcf732, v26
	v_add_f32_e32 v27, v33, v27
	v_mul_f32_e32 v33, 0xbe3c28d5, v30
	v_add_f32_e32 v32, v34, v32
	v_fma_f32 v34, v25, s31, -v33
	v_fmac_f32_e32 v33, 0xbf7ba420, v25
	v_add_f32_e32 v31, v39, v31
	v_mul_f32_e32 v39, 0xbe3c28d5, v29
	v_add_f32_e32 v33, v33, v41
	v_mul_f32_e32 v41, 0x3f763a35, v30
	v_add_f32_e32 v34, v34, v42
	v_fma_f32 v40, v26, s31, -v39
	v_fmac_f32_e32 v39, 0xbf7ba420, v26
	v_fma_f32 v42, v25, s27, -v41
	v_fmac_f32_e32 v41, 0xbe8c1d8e, v25
	v_add_f32_e32 v39, v39, v43
	v_mul_f32_e32 v43, 0x3f763a35, v29
	v_add_f32_e32 v41, v41, v45
	v_mul_f32_e32 v45, 0x3eb8f4ab, v30
	v_add_f32_e32 v40, v40, v44
	v_add_f32_e32 v42, v42, v46
	v_fma_f32 v44, v26, s27, -v43
	v_fmac_f32_e32 v43, 0xbe8c1d8e, v26
	v_fma_f32 v46, v25, s28, -v45
	v_fmac_f32_e32 v45, 0x3f6eb680, v25
	v_add_f32_e32 v43, v43, v47
	v_mul_f32_e32 v47, 0x3eb8f4ab, v29
	v_add_f32_e32 v45, v45, v49
	v_mul_f32_e32 v49, 0xbf65296c, v30
	v_add_f32_e32 v44, v44, v48
	;; [unrolled: 10-line block ×4, first 2 shown]
	v_add_f32_e32 v54, v54, v58
	v_fma_f32 v56, v26, s30, -v55
	v_fmac_f32_e32 v55, 0xbf59a7d5, v26
	v_fma_f32 v58, v25, s29, -v57
	v_fmac_f32_e32 v57, 0xbf1a4643, v25
	v_mul_f32_e32 v30, 0x3f2c7751, v30
	v_add_f32_e32 v55, v55, v59
	v_mul_f32_e32 v59, 0x3f4c4adb, v29
	v_add_f32_e32 v57, v57, v61
	v_fma_f32 v61, v25, s26, -v30
	v_mul_f32_e32 v29, 0x3f2c7751, v29
	v_fmac_f32_e32 v30, 0x3f3d2fb0, v25
	v_add_f32_e32 v16, v30, v16
	v_fma_f32 v25, v26, s26, -v29
	v_sub_f32_e32 v30, v36, v38
	v_add_f32_e32 v58, v58, v62
	v_mov_b32_e32 v62, v29
	v_add_f32_e32 v15, v25, v15
	v_add_f32_e32 v25, v37, v35
	v_sub_f32_e32 v29, v35, v37
	v_mul_f32_e32 v35, 0xbf763a35, v30
	v_add_f32_e32 v56, v56, v60
	v_fma_f32 v60, v26, s29, -v59
	v_fmac_f32_e32 v59, 0xbf1a4643, v26
	v_fmac_f32_e32 v62, 0x3f3d2fb0, v26
	v_add_f32_e32 v26, v38, v36
	v_fma_f32 v36, v25, s27, -v35
	v_add_f32_e32 v28, v36, v28
	v_mul_f32_e32 v36, 0xbf763a35, v29
	v_fmac_f32_e32 v35, 0xbe8c1d8e, v25
	v_fma_f32 v37, v26, s27, -v36
	v_fmac_f32_e32 v36, 0xbe8c1d8e, v26
	v_add_f32_e32 v27, v35, v27
	v_mul_f32_e32 v35, 0x3f06c442, v30
	v_add_f32_e32 v32, v36, v32
	v_fma_f32 v36, v25, s30, -v35
	v_add_f32_e32 v34, v36, v34
	v_mul_f32_e32 v36, 0x3f06c442, v29
	v_add_f32_e32 v31, v37, v31
	v_fma_f32 v37, v26, s30, -v36
	v_fmac_f32_e32 v35, 0xbf59a7d5, v25
	v_fmac_f32_e32 v36, 0xbf59a7d5, v26
	v_add_f32_e32 v33, v35, v33
	v_add_f32_e32 v35, v37, v40
	v_mul_f32_e32 v37, 0x3f2c7751, v30
	v_add_f32_e32 v36, v36, v39
	v_fma_f32 v38, v25, s26, -v37
	v_mul_f32_e32 v39, 0x3f2c7751, v29
	v_fmac_f32_e32 v37, 0x3f3d2fb0, v25
	v_fma_f32 v40, v26, s26, -v39
	v_fmac_f32_e32 v39, 0x3f3d2fb0, v26
	v_add_f32_e32 v37, v37, v41
	v_mul_f32_e32 v41, 0xbf65296c, v30
	v_add_f32_e32 v38, v38, v42
	v_add_f32_e32 v39, v39, v43
	v_fma_f32 v42, v25, s25, -v41
	v_mul_f32_e32 v43, 0xbf65296c, v29
	v_fmac_f32_e32 v41, 0x3ee437d1, v25
	v_add_f32_e32 v40, v40, v44
	v_fma_f32 v44, v26, s25, -v43
	v_fmac_f32_e32 v43, 0x3ee437d1, v26
	v_add_f32_e32 v41, v41, v45
	v_mul_f32_e32 v45, 0xbe3c28d5, v30
	v_add_f32_e32 v42, v42, v46
	v_add_f32_e32 v43, v43, v47
	v_fma_f32 v46, v25, s31, -v45
	v_mul_f32_e32 v47, 0xbe3c28d5, v29
	v_fmac_f32_e32 v45, 0xbf7ba420, v25
	v_add_f32_e32 v44, v44, v48
	;; [unrolled: 10-line block ×3, first 2 shown]
	v_fma_f32 v52, v26, s24, -v51
	v_fmac_f32_e32 v51, 0x3dbcf732, v26
	v_add_f32_e32 v49, v49, v53
	v_mul_f32_e32 v53, 0xbeb8f4ab, v30
	v_add_f32_e32 v50, v50, v54
	v_add_f32_e32 v51, v51, v55
	v_fma_f32 v54, v25, s28, -v53
	v_mul_f32_e32 v55, 0xbeb8f4ab, v29
	v_mul_f32_e32 v29, 0xbf4c4adb, v29
	v_add_f32_e32 v54, v54, v58
	v_fmac_f32_e32 v53, 0x3f6eb680, v25
	v_mul_f32_e32 v30, 0xbf4c4adb, v30
	v_mov_b32_e32 v58, v29
	v_add_f32_e32 v52, v52, v56
	v_fma_f32 v56, v26, s28, -v55
	v_fmac_f32_e32 v55, 0x3f6eb680, v26
	v_add_f32_e32 v53, v53, v57
	v_fma_f32 v57, v25, s29, -v30
	v_fmac_f32_e32 v58, 0xbf1a4643, v26
	v_fmac_f32_e32 v30, 0xbf1a4643, v25
	v_fma_f32 v25, v26, s29, -v29
	v_add_f32_e32 v26, v11, v5
	v_sub_f32_e32 v5, v5, v11
	v_add_f32_e32 v15, v25, v15
	v_add_f32_e32 v25, v10, v4
	v_sub_f32_e32 v4, v4, v10
	v_mul_f32_e32 v10, 0xbf4c4adb, v5
	v_fma_f32 v11, v25, s29, -v10
	v_add_f32_e32 v11, v11, v28
	v_mul_f32_e32 v28, 0xbf4c4adb, v4
	v_fma_f32 v29, v26, s29, -v28
	v_fmac_f32_e32 v10, 0xbf1a4643, v25
	v_add_f32_e32 v10, v10, v27
	v_add_f32_e32 v27, v29, v31
	v_mul_f32_e32 v29, 0x3f763a35, v5
	v_add_f32_e32 v16, v30, v16
	v_fma_f32 v30, v25, s27, -v29
	v_fmac_f32_e32 v29, 0xbe8c1d8e, v25
	v_fmac_f32_e32 v28, 0xbf1a4643, v26
	v_mul_f32_e32 v31, 0x3f763a35, v4
	v_add_f32_e32 v29, v29, v33
	v_mul_f32_e32 v33, 0xbeb8f4ab, v5
	v_add_f32_e32 v28, v28, v32
	v_add_f32_e32 v30, v30, v34
	v_fma_f32 v32, v26, s27, -v31
	v_fma_f32 v34, v25, s28, -v33
	v_fmac_f32_e32 v33, 0x3f6eb680, v25
	v_fmac_f32_e32 v31, 0xbe8c1d8e, v26
	v_add_f32_e32 v32, v32, v35
	v_mul_f32_e32 v35, 0xbeb8f4ab, v4
	v_add_f32_e32 v33, v33, v37
	v_mul_f32_e32 v37, 0xbf06c442, v5
	v_add_f32_e32 v31, v31, v36
	v_add_f32_e32 v34, v34, v38
	v_fma_f32 v36, v26, s28, -v35
	v_fmac_f32_e32 v35, 0x3f6eb680, v26
	v_fma_f32 v38, v25, s30, -v37
	v_fmac_f32_e32 v37, 0xbf59a7d5, v25
	v_add_f32_e32 v35, v35, v39
	v_mul_f32_e32 v39, 0xbf06c442, v4
	v_add_f32_e32 v37, v37, v41
	v_mul_f32_e32 v41, 0x3f7ee86f, v5
	v_add_f32_e32 v36, v36, v40
	v_add_f32_e32 v38, v38, v42
	v_fma_f32 v40, v26, s30, -v39
	v_fmac_f32_e32 v39, 0xbf59a7d5, v26
	v_fma_f32 v42, v25, s24, -v41
	;; [unrolled: 10-line block ×4, first 2 shown]
	v_fmac_f32_e32 v49, 0xbf7ba420, v25
	v_mul_f32_e32 v5, 0x3f65296c, v5
	v_add_f32_e32 v47, v47, v51
	v_mul_f32_e32 v51, 0xbe3c28d5, v4
	v_add_f32_e32 v49, v49, v53
	v_fma_f32 v53, v25, s25, -v5
	v_mul_f32_e32 v4, 0x3f65296c, v4
	v_fmac_f32_e32 v5, 0x3ee437d1, v25
	v_add_f32_e32 v50, v50, v54
	v_mov_b32_e32 v54, v4
	v_add_f32_e32 v5, v5, v16
	v_fma_f32 v4, v26, s25, -v4
	v_add_f32_e32 v16, v9, v7
	v_sub_f32_e32 v7, v7, v9
	v_add_f32_e32 v4, v4, v15
	v_add_f32_e32 v15, v8, v6
	v_sub_f32_e32 v6, v6, v8
	v_mul_f32_e32 v8, 0xbf06c442, v7
	v_fma_f32 v9, v15, s30, -v8
	v_add_f32_e32 v9, v9, v11
	v_mul_f32_e32 v11, 0xbf06c442, v6
	v_fma_f32 v25, v16, s30, -v11
	v_fmac_f32_e32 v8, 0xbf59a7d5, v15
	v_add_f32_e32 v8, v8, v10
	v_add_f32_e32 v10, v25, v27
	v_mul_f32_e32 v25, 0x3f65296c, v7
	v_add_f32_e32 v48, v48, v52
	v_fma_f32 v52, v26, s31, -v51
	v_fmac_f32_e32 v51, 0xbf7ba420, v26
	v_fmac_f32_e32 v54, 0x3ee437d1, v26
	;; [unrolled: 1-line block ×3, first 2 shown]
	v_fma_f32 v26, v15, s25, -v25
	v_mul_f32_e32 v27, 0x3f65296c, v6
	v_fmac_f32_e32 v25, 0x3ee437d1, v15
	v_add_f32_e32 v11, v11, v28
	v_fma_f32 v28, v16, s25, -v27
	v_fmac_f32_e32 v27, 0x3ee437d1, v16
	v_add_f32_e32 v25, v25, v29
	v_mul_f32_e32 v29, 0xbf7ee86f, v7
	v_add_f32_e32 v26, v26, v30
	v_add_f32_e32 v27, v27, v31
	v_fma_f32 v30, v15, s24, -v29
	v_mul_f32_e32 v31, 0xbf7ee86f, v6
	v_fmac_f32_e32 v29, 0x3dbcf732, v15
	v_add_f32_e32 v28, v28, v32
	v_fma_f32 v32, v16, s24, -v31
	v_fmac_f32_e32 v31, 0x3dbcf732, v16
	v_add_f32_e32 v29, v29, v33
	v_mul_f32_e32 v33, 0x3f4c4adb, v7
	v_add_f32_e32 v30, v30, v34
	v_add_f32_e32 v31, v31, v35
	;; [unrolled: 10-line block ×3, first 2 shown]
	v_fma_f32 v38, v15, s28, -v37
	v_mul_f32_e32 v39, 0xbeb8f4ab, v6
	v_fmac_f32_e32 v37, 0x3f6eb680, v15
	v_add_f32_e32 v67, v67, v71
	v_add_f32_e32 v68, v68, v72
	;; [unrolled: 1-line block ×4, first 2 shown]
	v_fma_f32 v40, v16, s28, -v39
	v_fmac_f32_e32 v39, 0x3f6eb680, v16
	v_add_f32_e32 v37, v37, v41
	v_mul_f32_e32 v41, 0xbe3c28d5, v7
	v_add_f32_e32 v70, v70, v74
	v_add_f32_e32 v63, v63, v67
	v_add_f32_e32 v64, v64, v68
	v_add_f32_e32 v65, v65, v69
	v_add_f32_e32 v38, v38, v42
	v_add_f32_e32 v39, v39, v43
	v_fma_f32 v42, v15, s31, -v41
	v_mul_f32_e32 v43, 0xbe3c28d5, v6
	v_fmac_f32_e32 v41, 0xbf7ba420, v15
	v_add_f32_e32 v66, v66, v70
	v_add_f32_e32 v59, v59, v63
	;; [unrolled: 1-line block ×5, first 2 shown]
	v_fma_f32 v44, v16, s31, -v43
	v_fmac_f32_e32 v43, 0xbf7ba420, v16
	v_add_f32_e32 v41, v41, v45
	v_mul_f32_e32 v45, 0x3f2c7751, v7
	v_add_f32_e32 v62, v62, v66
	v_add_f32_e32 v55, v55, v59
	;; [unrolled: 1-line block ×6, first 2 shown]
	v_fma_f32 v46, v15, s26, -v45
	v_mul_f32_e32 v47, 0x3f2c7751, v6
	v_fmac_f32_e32 v45, 0x3f3d2fb0, v15
	v_mul_f32_e32 v7, 0xbf763a35, v7
	v_mul_f32_e32 v6, 0xbf763a35, v6
	v_add_f32_e32 v58, v58, v62
	v_add_f32_e32 v51, v51, v55
	;; [unrolled: 1-line block ×6, first 2 shown]
	v_fma_f32 v48, v16, s26, -v47
	v_fmac_f32_e32 v47, 0x3f3d2fb0, v16
	v_add_f32_e32 v45, v45, v49
	v_fma_f32 v49, v15, s27, -v7
	v_mov_b32_e32 v50, v6
	v_fmac_f32_e32 v7, 0xbe8c1d8e, v15
	v_sub_f32_e32 v56, v1, v3
	v_add_f32_e32 v54, v54, v58
	v_add_f32_e32 v47, v47, v51
	;; [unrolled: 1-line block ×3, first 2 shown]
	v_fmac_f32_e32 v50, 0xbe8c1d8e, v16
	v_add_f32_e32 v51, v7, v5
	v_fma_f32 v5, v16, s27, -v6
	v_add_f32_e32 v53, v2, v0
	v_sub_f32_e32 v55, v0, v2
	v_mul_f32_e32 v6, 0x3eb8f4ab, v56
	v_add_f32_e32 v48, v48, v52
	v_add_f32_e32 v50, v50, v54
	;; [unrolled: 1-line block ×4, first 2 shown]
	v_mul_f32_e32 v2, 0xbe3c28d5, v56
	v_mul_f32_e32 v1, 0xbe3c28d5, v55
	v_fma_f32 v4, v53, s28, -v6
	v_fmac_f32_e32 v6, 0x3f6eb680, v53
	v_fma_f32 v0, v53, s31, -v2
	v_fma_f32 v3, v54, s31, -v1
	v_add_f32_e32 v6, v6, v25
	v_mul_f32_e32 v25, 0x3f2c7751, v56
	v_add_f32_e32 v0, v0, v9
	v_fmac_f32_e32 v1, 0xbf7ba420, v54
	v_fmac_f32_e32 v2, 0xbf7ba420, v53
	v_add_f32_e32 v3, v3, v10
	v_mul_f32_e32 v5, 0x3eb8f4ab, v55
	v_mul_f32_e32 v10, 0xbf06c442, v56
	;; [unrolled: 1-line block ×3, first 2 shown]
	v_fma_f32 v15, v53, s26, -v25
	v_fmac_f32_e32 v25, 0x3f3d2fb0, v53
	v_add_f32_e32 v1, v1, v11
	v_add_f32_e32 v2, v2, v8
	v_fma_f32 v7, v54, s28, -v5
	v_fma_f32 v8, v53, s30, -v10
	;; [unrolled: 1-line block ×3, first 2 shown]
	v_fmac_f32_e32 v9, 0xbf59a7d5, v54
	v_fmac_f32_e32 v10, 0xbf59a7d5, v53
	v_add_f32_e32 v25, v25, v33
	v_mul_f32_e32 v33, 0x3f65296c, v56
	v_fmac_f32_e32 v5, 0x3f6eb680, v54
	v_add_f32_e32 v7, v7, v28
	v_add_f32_e32 v9, v9, v31
	;; [unrolled: 1-line block ×3, first 2 shown]
	v_mul_f32_e32 v16, 0x3f2c7751, v55
	v_mul_f32_e32 v29, 0xbf4c4adb, v56
	;; [unrolled: 1-line block ×3, first 2 shown]
	v_fma_f32 v31, v53, s25, -v33
	v_add_f32_e32 v4, v4, v26
	v_add_f32_e32 v5, v5, v27
	;; [unrolled: 1-line block ×3, first 2 shown]
	v_fma_f32 v26, v54, s26, -v16
	v_fma_f32 v27, v53, s29, -v29
	;; [unrolled: 1-line block ×3, first 2 shown]
	v_fmac_f32_e32 v29, 0xbf1a4643, v53
	v_add_f32_e32 v31, v31, v42
	v_fmac_f32_e32 v33, 0x3ee437d1, v53
	v_mul_f32_e32 v42, 0x3f7ee86f, v55
	v_add_f32_e32 v11, v11, v32
	v_fmac_f32_e32 v16, 0x3f3d2fb0, v54
	v_add_f32_e32 v26, v26, v36
	v_fmac_f32_e32 v28, 0xbf1a4643, v54
	v_add_f32_e32 v29, v29, v37
	v_add_f32_e32 v30, v30, v40
	v_mul_f32_e32 v32, 0x3f65296c, v55
	v_add_f32_e32 v33, v33, v41
	v_mul_f32_e32 v37, 0xbf763a35, v56
	v_mul_f32_e32 v36, 0xbf763a35, v55
	;; [unrolled: 1-line block ×3, first 2 shown]
	v_mov_b32_e32 v40, v42
	v_add_f32_e32 v15, v15, v34
	v_add_f32_e32 v16, v16, v35
	;; [unrolled: 1-line block ×4, first 2 shown]
	v_fma_f32 v34, v54, s25, -v32
	v_fmac_f32_e32 v32, 0x3ee437d1, v54
	v_fma_f32 v35, v53, s27, -v37
	v_fma_f32 v38, v54, s27, -v36
	v_fmac_f32_e32 v36, 0xbe8c1d8e, v54
	v_fmac_f32_e32 v37, 0xbe8c1d8e, v53
	v_fma_f32 v39, v53, s24, -v41
	v_fmac_f32_e32 v40, 0x3dbcf732, v54
	v_fmac_f32_e32 v41, 0x3dbcf732, v53
	v_fma_f32 v42, v54, s24, -v42
	v_add_f32_e32 v32, v32, v43
	v_add_f32_e32 v34, v34, v44
	;; [unrolled: 1-line block ×10, first 2 shown]
	ds_write2_b64 v22, v[13:14], v[0:1] offset1:1
	ds_write2_b64 v22, v[4:5], v[8:9] offset0:2 offset1:3
	ds_write2_b64 v22, v[15:16], v[27:28] offset0:4 offset1:5
	;; [unrolled: 1-line block ×7, first 2 shown]
	ds_write_b64 v22, v[2:3] offset:128
	s_waitcnt lgkmcnt(0)
	s_barrier
	ds_read2_b64 v[0:3], v22 offset1:1
	ds_read2_b64 v[4:7], v22 offset0:2 offset1:3
	s_load_dwordx16 s[68:83], s[6:7], 0xc0
	v_mad_u64_u32 v[13:14], s[34:35], s2, v12, 0
	s_waitcnt lgkmcnt(0)
	v_mul_f32_e32 v8, s55, v1
	v_mul_f32_e32 v9, s55, v0
	v_fma_f32 v8, v0, s54, -v8
	v_fmac_f32_e32 v9, s54, v1
	v_mul_f32_e32 v0, s57, v3
	v_mul_f32_e32 v1, s57, v2
	v_fma_f32 v0, v2, s56, -v0
	v_fmac_f32_e32 v1, s56, v3
	ds_write2_b64 v22, v[8:9], v[0:1] offset1:1
	v_mul_f32_e32 v0, s59, v5
	v_fma_f32 v8, v4, s58, -v0
	v_mul_f32_e32 v0, s61, v7
	v_mul_f32_e32 v9, s59, v4
	v_fma_f32 v4, v6, s60, -v0
	ds_read2_b64 v[0:3], v22 offset0:4 offset1:5
	v_fmac_f32_e32 v9, s58, v5
	v_mul_f32_e32 v5, s61, v6
	v_fmac_f32_e32 v5, s60, v7
	ds_write2_b64 v22, v[8:9], v[4:5] offset0:2 offset1:3
	ds_read2_b64 v[4:7], v22 offset0:6 offset1:7
	s_waitcnt lgkmcnt(2)
	v_mul_f32_e32 v8, s63, v1
	v_mul_f32_e32 v9, s63, v0
	v_fma_f32 v8, v0, s62, -v8
	v_fmac_f32_e32 v9, s62, v1
	v_mul_f32_e32 v0, s65, v3
	v_mul_f32_e32 v1, s65, v2
	v_fma_f32 v0, v2, s64, -v0
	v_fmac_f32_e32 v1, s64, v3
	ds_write2_b64 v22, v[8:9], v[0:1] offset0:4 offset1:5
	s_waitcnt lgkmcnt(1)
	v_mul_f32_e32 v0, s67, v5
	v_fma_f32 v8, v4, s66, -v0
	v_mul_f32_e32 v0, s69, v7
	v_mul_f32_e32 v9, s67, v4
	v_fma_f32 v4, v6, s68, -v0
	ds_read2_b64 v[0:3], v22 offset0:8 offset1:9
	v_fmac_f32_e32 v9, s66, v5
	v_mul_f32_e32 v5, s69, v6
	v_fmac_f32_e32 v5, s68, v7
	ds_write2_b64 v22, v[8:9], v[4:5] offset0:6 offset1:7
	ds_read2_b64 v[4:7], v22 offset0:10 offset1:11
	s_waitcnt lgkmcnt(2)
	v_mul_f32_e32 v8, s71, v1
	v_mul_f32_e32 v9, s71, v0
	v_fma_f32 v8, v0, s70, -v8
	v_fmac_f32_e32 v9, s70, v1
	v_mul_f32_e32 v0, s73, v3
	v_mul_f32_e32 v1, s73, v2
	v_fma_f32 v0, v2, s72, -v0
	v_fmac_f32_e32 v1, s72, v3
	ds_write2_b64 v22, v[8:9], v[0:1] offset0:8 offset1:9
	s_waitcnt lgkmcnt(1)
	v_mul_f32_e32 v0, s75, v5
	v_fma_f32 v8, v4, s74, -v0
	v_mul_f32_e32 v0, s77, v7
	v_mul_f32_e32 v9, s75, v4
	v_fma_f32 v4, v6, s76, -v0
	ds_read2_b64 v[0:3], v22 offset0:12 offset1:13
	v_fmac_f32_e32 v9, s74, v5
	v_mul_f32_e32 v5, s77, v6
	v_fmac_f32_e32 v5, s76, v7
	ds_write2_b64 v22, v[8:9], v[4:5] offset0:10 offset1:11
	ds_read2_b64 v[4:7], v22 offset0:14 offset1:15
	s_waitcnt lgkmcnt(2)
	v_mul_f32_e32 v8, s79, v1
	v_mul_f32_e32 v9, s79, v0
	s_load_dwordx4 s[56:59], s[6:7], 0x100
	v_fma_f32 v8, v0, s78, -v8
	v_fmac_f32_e32 v9, s78, v1
	v_mul_f32_e32 v0, s81, v3
	v_mul_f32_e32 v1, s81, v2
	v_fma_f32 v0, v2, s80, -v0
	v_fmac_f32_e32 v1, s80, v3
	ds_read_b64 v[2:3], v22 offset:128
	ds_write2_b64 v22, v[8:9], v[0:1] offset0:12 offset1:13
	s_waitcnt lgkmcnt(0)
	v_mul_f32_e32 v0, s83, v5
	v_mul_f32_e32 v1, s83, v4
	v_fma_f32 v0, v4, s82, -v0
	v_fmac_f32_e32 v1, s82, v5
	v_mul_f32_e32 v4, s57, v7
	v_mul_f32_e32 v5, s57, v6
	v_fma_f32 v4, v6, s56, -v4
	v_fmac_f32_e32 v5, s56, v7
	ds_write2_b64 v22, v[0:1], v[4:5] offset0:14 offset1:15
	v_mul_f32_e32 v0, s59, v3
	v_mul_f32_e32 v1, s59, v2
	v_fma_f32 v0, v2, s58, -v0
	v_fmac_f32_e32 v1, s58, v3
	ds_write_b64 v22, v[0:1] offset:128
	s_waitcnt lgkmcnt(0)
	s_barrier
	ds_read2_b64 v[25:28], v22 offset1:1
	ds_read2_b64 v[29:32], v22 offset0:2 offset1:3
	ds_read2_b64 v[33:36], v22 offset0:4 offset1:5
	;; [unrolled: 1-line block ×7, first 2 shown]
	ds_read_b64 v[45:46], v22 offset:128
	s_waitcnt lgkmcnt(8)
	v_add_f32_e32 v15, v25, v27
	s_waitcnt lgkmcnt(7)
	v_add_f32_e32 v15, v15, v29
	v_add_f32_e32 v16, v26, v28
	v_add_f32_e32 v15, v15, v31
	v_add_f32_e32 v16, v16, v30
	s_waitcnt lgkmcnt(6)
	v_add_f32_e32 v15, v15, v33
	v_add_f32_e32 v16, v16, v32
	v_add_f32_e32 v15, v15, v35
	;; [unrolled: 5-line block ×7, first 2 shown]
	s_waitcnt lgkmcnt(0)
	v_add_f32_e32 v48, v46, v28
	v_sub_f32_e32 v28, v28, v46
	v_add_f32_e32 v16, v16, v42
	v_add_f32_e32 v15, v15, v45
	;; [unrolled: 1-line block ×3, first 2 shown]
	v_sub_f32_e32 v27, v27, v45
	v_mul_f32_e32 v45, 0xbeb8f4ab, v28
	v_mul_f32_e32 v51, 0xbf2c7751, v28
	;; [unrolled: 1-line block ×8, first 2 shown]
	v_add_f32_e32 v16, v16, v44
	v_mov_b32_e32 v75, v28
	v_add_f32_e32 v16, v16, v46
	v_fma_f32 v46, v47, s28, -v45
	v_fmac_f32_e32 v45, 0x3f6eb680, v47
	v_mul_f32_e32 v49, 0x3f6eb680, v48
	v_fma_f32 v52, v47, s26, -v51
	v_fmac_f32_e32 v51, 0x3f3d2fb0, v47
	v_mul_f32_e32 v53, 0x3f3d2fb0, v48
	;; [unrolled: 3-line block ×7, first 2 shown]
	v_fmac_f32_e32 v75, 0xbf7ba420, v47
	v_mul_f32_e32 v48, 0xbf7ba420, v48
	v_fma_f32 v28, v47, s31, -v28
	v_add_f32_e32 v45, v25, v45
	v_mov_b32_e32 v50, v49
	v_add_f32_e32 v46, v25, v46
	v_add_f32_e32 v51, v25, v51
	v_mov_b32_e32 v54, v53
	v_add_f32_e32 v52, v25, v52
	;; [unrolled: 3-line block ×8, first 2 shown]
	v_add_f32_e32 v28, v44, v30
	v_sub_f32_e32 v30, v30, v44
	v_fmac_f32_e32 v50, 0x3eb8f4ab, v27
	v_fmac_f32_e32 v49, 0xbeb8f4ab, v27
	;; [unrolled: 1-line block ×16, first 2 shown]
	v_add_f32_e32 v27, v43, v29
	v_sub_f32_e32 v29, v29, v43
	v_mul_f32_e32 v43, 0xbf2c7751, v30
	v_fma_f32 v44, v27, s26, -v43
	v_fmac_f32_e32 v43, 0x3f3d2fb0, v27
	v_add_f32_e32 v43, v43, v45
	v_mul_f32_e32 v45, 0x3f3d2fb0, v28
	v_add_f32_e32 v49, v26, v49
	v_mov_b32_e32 v47, v45
	v_add_f32_e32 v44, v44, v46
	v_fmac_f32_e32 v45, 0xbf2c7751, v29
	v_mul_f32_e32 v46, 0xbf7ee86f, v30
	v_add_f32_e32 v50, v26, v50
	v_add_f32_e32 v54, v26, v54
	;; [unrolled: 1-line block ×15, first 2 shown]
	v_fmac_f32_e32 v47, 0x3f2c7751, v29
	v_add_f32_e32 v45, v45, v49
	v_fma_f32 v48, v27, s24, -v46
	v_fmac_f32_e32 v46, 0x3dbcf732, v27
	v_mul_f32_e32 v49, 0x3dbcf732, v28
	v_add_f32_e32 v47, v47, v50
	v_add_f32_e32 v46, v46, v51
	v_mov_b32_e32 v50, v49
	v_fmac_f32_e32 v49, 0xbf7ee86f, v29
	v_mul_f32_e32 v51, 0xbf4c4adb, v30
	v_fmac_f32_e32 v50, 0x3f7ee86f, v29
	v_add_f32_e32 v48, v48, v52
	v_add_f32_e32 v49, v49, v53
	v_fma_f32 v52, v27, s29, -v51
	v_fmac_f32_e32 v51, 0xbf1a4643, v27
	v_mul_f32_e32 v53, 0xbf1a4643, v28
	v_add_f32_e32 v50, v50, v54
	v_add_f32_e32 v51, v51, v55
	v_mov_b32_e32 v54, v53
	v_fmac_f32_e32 v53, 0xbf4c4adb, v29
	v_mul_f32_e32 v55, 0xbe3c28d5, v30
	v_fmac_f32_e32 v54, 0x3f4c4adb, v29
	v_add_f32_e32 v52, v52, v56
	;; [unrolled: 11-line block ×4, first 2 shown]
	v_add_f32_e32 v61, v61, v65
	v_fma_f32 v64, v27, s27, -v63
	v_fmac_f32_e32 v63, 0xbe8c1d8e, v27
	v_mul_f32_e32 v65, 0xbe8c1d8e, v28
	v_add_f32_e32 v62, v62, v66
	v_add_f32_e32 v63, v63, v67
	v_mov_b32_e32 v66, v65
	v_fmac_f32_e32 v65, 0x3f763a35, v29
	v_mul_f32_e32 v67, 0x3f65296c, v30
	v_add_f32_e32 v64, v64, v68
	v_add_f32_e32 v65, v65, v69
	v_fma_f32 v68, v27, s25, -v67
	v_fmac_f32_e32 v67, 0x3ee437d1, v27
	v_mul_f32_e32 v69, 0x3ee437d1, v28
	v_mul_f32_e32 v30, 0x3eb8f4ab, v30
	v_mul_f32_e32 v28, 0x3f6eb680, v28
	v_fmac_f32_e32 v66, 0xbf763a35, v29
	v_add_f32_e32 v67, v67, v71
	v_add_f32_e32 v68, v68, v72
	v_mov_b32_e32 v71, v30
	v_mov_b32_e32 v72, v28
	v_fmac_f32_e32 v28, 0x3eb8f4ab, v29
	v_add_f32_e32 v66, v66, v70
	v_mov_b32_e32 v70, v69
	v_fmac_f32_e32 v71, 0x3f6eb680, v27
	v_fma_f32 v27, v27, s28, -v30
	v_add_f32_e32 v26, v28, v26
	v_add_f32_e32 v28, v42, v32
	v_sub_f32_e32 v30, v32, v42
	v_fmac_f32_e32 v70, 0xbf65296c, v29
	v_fmac_f32_e32 v69, 0x3f65296c, v29
	;; [unrolled: 1-line block ×3, first 2 shown]
	v_add_f32_e32 v25, v27, v25
	v_add_f32_e32 v27, v41, v31
	v_sub_f32_e32 v29, v31, v41
	v_mul_f32_e32 v31, 0xbf65296c, v30
	v_mul_f32_e32 v41, 0x3ee437d1, v28
	v_fma_f32 v32, v27, s25, -v31
	v_fmac_f32_e32 v31, 0x3ee437d1, v27
	v_mov_b32_e32 v42, v41
	v_add_f32_e32 v31, v31, v43
	v_fmac_f32_e32 v42, 0x3f65296c, v29
	v_fmac_f32_e32 v41, 0xbf65296c, v29
	v_mul_f32_e32 v43, 0xbf4c4adb, v30
	v_add_f32_e32 v42, v42, v47
	v_add_f32_e32 v32, v32, v44
	;; [unrolled: 1-line block ×3, first 2 shown]
	v_fma_f32 v44, v27, s29, -v43
	v_fmac_f32_e32 v43, 0xbf1a4643, v27
	v_mul_f32_e32 v45, 0xbf1a4643, v28
	v_mul_f32_e32 v47, 0x3e3c28d5, v30
	v_add_f32_e32 v43, v43, v46
	v_mov_b32_e32 v46, v45
	v_add_f32_e32 v44, v44, v48
	v_fmac_f32_e32 v45, 0xbf4c4adb, v29
	v_fma_f32 v48, v27, s31, -v47
	v_fmac_f32_e32 v47, 0xbf7ba420, v27
	v_fmac_f32_e32 v46, 0x3f4c4adb, v29
	v_add_f32_e32 v45, v45, v49
	v_add_f32_e32 v47, v47, v51
	v_mul_f32_e32 v49, 0xbf7ba420, v28
	v_mul_f32_e32 v51, 0x3f763a35, v30
	v_add_f32_e32 v46, v46, v50
	v_mov_b32_e32 v50, v49
	v_add_f32_e32 v48, v48, v52
	v_fmac_f32_e32 v49, 0x3e3c28d5, v29
	v_fma_f32 v52, v27, s27, -v51
	v_fmac_f32_e32 v51, 0xbe8c1d8e, v27
	v_fmac_f32_e32 v50, 0xbe3c28d5, v29
	v_add_f32_e32 v49, v49, v53
	v_add_f32_e32 v51, v51, v55
	;; [unrolled: 11-line block ×4, first 2 shown]
	v_mul_f32_e32 v61, 0x3f6eb680, v28
	v_mul_f32_e32 v63, 0xbf7ee86f, v30
	v_add_f32_e32 v58, v58, v62
	v_mov_b32_e32 v62, v61
	v_add_f32_e32 v60, v60, v64
	v_fmac_f32_e32 v61, 0xbeb8f4ab, v29
	v_fma_f32 v64, v27, s24, -v63
	v_fmac_f32_e32 v63, 0x3dbcf732, v27
	v_mul_f32_e32 v30, 0xbf06c442, v30
	v_fmac_f32_e32 v62, 0x3eb8f4ab, v29
	v_add_f32_e32 v61, v61, v65
	v_add_f32_e32 v63, v63, v67
	v_mul_f32_e32 v65, 0x3dbcf732, v28
	v_mov_b32_e32 v67, v30
	v_mul_f32_e32 v28, 0xbf59a7d5, v28
	v_add_f32_e32 v62, v62, v66
	v_mov_b32_e32 v66, v65
	v_add_f32_e32 v64, v64, v68
	v_fmac_f32_e32 v67, 0xbf59a7d5, v27
	v_mov_b32_e32 v68, v28
	v_fma_f32 v27, v27, s30, -v30
	v_sub_f32_e32 v30, v34, v40
	v_fmac_f32_e32 v66, 0x3f7ee86f, v29
	v_fmac_f32_e32 v65, 0xbf7ee86f, v29
	;; [unrolled: 1-line block ×3, first 2 shown]
	v_add_f32_e32 v25, v27, v25
	v_fmac_f32_e32 v28, 0xbf06c442, v29
	v_add_f32_e32 v27, v39, v33
	v_sub_f32_e32 v29, v33, v39
	v_mul_f32_e32 v33, 0xbf7ee86f, v30
	v_add_f32_e32 v26, v28, v26
	v_add_f32_e32 v28, v40, v34
	v_fma_f32 v34, v27, s24, -v33
	v_fmac_f32_e32 v33, 0x3dbcf732, v27
	v_add_f32_e32 v31, v33, v31
	v_mul_f32_e32 v33, 0x3dbcf732, v28
	v_add_f32_e32 v32, v34, v32
	v_mul_f32_e32 v34, 0xbe3c28d5, v30
	v_mov_b32_e32 v39, v33
	v_fmac_f32_e32 v33, 0xbf7ee86f, v29
	v_fma_f32 v40, v27, s31, -v34
	v_fmac_f32_e32 v34, 0xbf7ba420, v27
	v_fmac_f32_e32 v39, 0x3f7ee86f, v29
	v_add_f32_e32 v33, v33, v41
	v_add_f32_e32 v34, v34, v43
	v_mul_f32_e32 v41, 0xbf7ba420, v28
	v_mul_f32_e32 v43, 0x3f763a35, v30
	v_add_f32_e32 v39, v39, v42
	v_mov_b32_e32 v42, v41
	v_add_f32_e32 v40, v40, v44
	v_fmac_f32_e32 v41, 0xbe3c28d5, v29
	v_fma_f32 v44, v27, s27, -v43
	v_fmac_f32_e32 v43, 0xbe8c1d8e, v27
	v_fmac_f32_e32 v42, 0x3e3c28d5, v29
	v_add_f32_e32 v41, v41, v45
	v_add_f32_e32 v43, v43, v47
	v_mul_f32_e32 v45, 0xbe8c1d8e, v28
	v_mul_f32_e32 v47, 0x3eb8f4ab, v30
	v_add_f32_e32 v42, v42, v46
	v_mov_b32_e32 v46, v45
	v_add_f32_e32 v44, v44, v48
	;; [unrolled: 11-line block ×5, first 2 shown]
	v_fmac_f32_e32 v57, 0xbf06c442, v29
	v_fma_f32 v60, v27, s29, -v59
	v_fmac_f32_e32 v59, 0xbf1a4643, v27
	v_mul_f32_e32 v30, 0x3f2c7751, v30
	v_fmac_f32_e32 v58, 0x3f06c442, v29
	v_add_f32_e32 v57, v57, v61
	v_add_f32_e32 v59, v59, v63
	v_mul_f32_e32 v61, 0xbf1a4643, v28
	v_mov_b32_e32 v63, v30
	v_mul_f32_e32 v28, 0x3f3d2fb0, v28
	v_add_f32_e32 v58, v58, v62
	v_mov_b32_e32 v62, v61
	v_add_f32_e32 v60, v60, v64
	v_fmac_f32_e32 v63, 0x3f3d2fb0, v27
	v_mov_b32_e32 v64, v28
	v_fma_f32 v27, v27, s26, -v30
	v_sub_f32_e32 v30, v36, v38
	v_fmac_f32_e32 v62, 0xbf4c4adb, v29
	v_fmac_f32_e32 v61, 0x3f4c4adb, v29
	;; [unrolled: 1-line block ×3, first 2 shown]
	v_add_f32_e32 v25, v27, v25
	v_fmac_f32_e32 v28, 0x3f2c7751, v29
	v_add_f32_e32 v27, v37, v35
	v_sub_f32_e32 v29, v35, v37
	v_mul_f32_e32 v35, 0xbf763a35, v30
	v_add_f32_e32 v26, v28, v26
	v_add_f32_e32 v28, v38, v36
	v_fma_f32 v36, v27, s27, -v35
	v_fmac_f32_e32 v35, 0xbe8c1d8e, v27
	v_add_f32_e32 v31, v35, v31
	v_mul_f32_e32 v35, 0xbe8c1d8e, v28
	v_mov_b32_e32 v37, v35
	v_fmac_f32_e32 v35, 0xbf763a35, v29
	v_add_f32_e32 v33, v35, v33
	v_mul_f32_e32 v35, 0x3f06c442, v30
	v_add_f32_e32 v32, v36, v32
	v_fma_f32 v36, v27, s30, -v35
	v_fmac_f32_e32 v35, 0xbf59a7d5, v27
	v_fmac_f32_e32 v37, 0x3f763a35, v29
	v_add_f32_e32 v34, v35, v34
	v_mul_f32_e32 v35, 0xbf59a7d5, v28
	v_add_f32_e32 v37, v37, v39
	v_mov_b32_e32 v38, v35
	v_fmac_f32_e32 v35, 0x3f06c442, v29
	v_mul_f32_e32 v39, 0x3f2c7751, v30
	v_fmac_f32_e32 v38, 0xbf06c442, v29
	v_add_f32_e32 v36, v36, v40
	v_add_f32_e32 v35, v35, v41
	v_fma_f32 v40, v27, s26, -v39
	v_fmac_f32_e32 v39, 0x3f3d2fb0, v27
	v_mul_f32_e32 v41, 0x3f3d2fb0, v28
	v_add_f32_e32 v38, v38, v42
	v_add_f32_e32 v39, v39, v43
	v_mov_b32_e32 v42, v41
	v_fmac_f32_e32 v41, 0x3f2c7751, v29
	v_mul_f32_e32 v43, 0xbf65296c, v30
	v_fmac_f32_e32 v42, 0xbf2c7751, v29
	v_add_f32_e32 v40, v40, v44
	v_add_f32_e32 v41, v41, v45
	v_fma_f32 v44, v27, s25, -v43
	v_fmac_f32_e32 v43, 0x3ee437d1, v27
	v_mul_f32_e32 v45, 0x3ee437d1, v28
	v_add_f32_e32 v42, v42, v46
	;; [unrolled: 11-line block ×4, first 2 shown]
	v_add_f32_e32 v51, v51, v55
	v_mov_b32_e32 v54, v53
	v_fmac_f32_e32 v53, 0x3f7ee86f, v29
	v_mul_f32_e32 v55, 0xbeb8f4ab, v30
	v_add_f32_e32 v52, v52, v56
	v_add_f32_e32 v53, v53, v57
	v_fma_f32 v56, v27, s28, -v55
	v_fmac_f32_e32 v55, 0x3f6eb680, v27
	v_mul_f32_e32 v57, 0x3f6eb680, v28
	v_mul_f32_e32 v30, 0xbf4c4adb, v30
	;; [unrolled: 1-line block ×3, first 2 shown]
	v_add_f32_e32 v55, v55, v59
	v_add_f32_e32 v56, v56, v60
	v_mov_b32_e32 v59, v30
	v_mov_b32_e32 v60, v28
	v_fmac_f32_e32 v28, 0xbf4c4adb, v29
	v_fmac_f32_e32 v54, 0xbf7ee86f, v29
	;; [unrolled: 1-line block ×3, first 2 shown]
	v_fma_f32 v27, v27, s29, -v30
	v_add_f32_e32 v26, v28, v26
	v_add_f32_e32 v28, v11, v5
	v_sub_f32_e32 v5, v5, v11
	v_add_f32_e32 v54, v54, v58
	v_mov_b32_e32 v58, v57
	v_add_f32_e32 v25, v27, v25
	v_add_f32_e32 v27, v10, v4
	v_sub_f32_e32 v4, v4, v10
	v_mul_f32_e32 v10, 0xbf4c4adb, v5
	v_fmac_f32_e32 v58, 0x3eb8f4ab, v29
	v_fmac_f32_e32 v57, 0xbeb8f4ab, v29
	;; [unrolled: 1-line block ×3, first 2 shown]
	v_fma_f32 v11, v27, s29, -v10
	v_fmac_f32_e32 v10, 0xbf1a4643, v27
	v_mul_f32_e32 v29, 0xbf1a4643, v28
	v_add_f32_e32 v10, v10, v31
	v_mov_b32_e32 v30, v29
	v_fmac_f32_e32 v29, 0xbf4c4adb, v4
	v_mul_f32_e32 v31, 0x3f763a35, v5
	v_add_f32_e32 v11, v11, v32
	v_add_f32_e32 v29, v29, v33
	v_fma_f32 v32, v27, s27, -v31
	v_fmac_f32_e32 v31, 0xbe8c1d8e, v27
	v_mul_f32_e32 v33, 0xbe8c1d8e, v28
	v_add_f32_e32 v31, v31, v34
	v_mov_b32_e32 v34, v33
	v_fmac_f32_e32 v33, 0x3f763a35, v4
	v_fmac_f32_e32 v30, 0x3f4c4adb, v4
	v_add_f32_e32 v33, v33, v35
	v_mul_f32_e32 v35, 0xbeb8f4ab, v5
	v_add_f32_e32 v30, v30, v37
	v_fmac_f32_e32 v34, 0xbf763a35, v4
	v_add_f32_e32 v32, v32, v36
	v_fma_f32 v36, v27, s28, -v35
	v_fmac_f32_e32 v35, 0x3f6eb680, v27
	v_mul_f32_e32 v37, 0x3f6eb680, v28
	v_add_f32_e32 v34, v34, v38
	v_add_f32_e32 v35, v35, v39
	v_mov_b32_e32 v38, v37
	v_fmac_f32_e32 v37, 0xbeb8f4ab, v4
	v_mul_f32_e32 v39, 0xbf06c442, v5
	v_fmac_f32_e32 v38, 0x3eb8f4ab, v4
	v_add_f32_e32 v36, v36, v40
	v_add_f32_e32 v37, v37, v41
	v_fma_f32 v40, v27, s30, -v39
	v_fmac_f32_e32 v39, 0xbf59a7d5, v27
	v_mul_f32_e32 v41, 0xbf59a7d5, v28
	v_add_f32_e32 v38, v38, v42
	v_add_f32_e32 v39, v39, v43
	v_mov_b32_e32 v42, v41
	v_fmac_f32_e32 v41, 0xbf06c442, v4
	v_mul_f32_e32 v43, 0x3f7ee86f, v5
	v_fmac_f32_e32 v42, 0x3f06c442, v4
	v_add_f32_e32 v40, v40, v44
	;; [unrolled: 11-line block ×4, first 2 shown]
	v_add_f32_e32 v49, v49, v53
	v_fma_f32 v52, v27, s31, -v51
	v_mul_f32_e32 v53, 0xbf7ba420, v28
	v_mul_f32_e32 v28, 0x3ee437d1, v28
	v_add_f32_e32 v50, v50, v54
	v_fmac_f32_e32 v51, 0xbf7ba420, v27
	v_mov_b32_e32 v54, v53
	v_add_f32_e32 v52, v52, v56
	v_mul_f32_e32 v5, 0x3f65296c, v5
	v_mov_b32_e32 v56, v28
	v_fmac_f32_e32 v28, 0x3f65296c, v4
	v_add_f32_e32 v51, v51, v55
	v_fmac_f32_e32 v54, 0x3e3c28d5, v4
	v_fmac_f32_e32 v53, 0xbe3c28d5, v4
	v_mov_b32_e32 v55, v5
	v_fmac_f32_e32 v56, 0xbf65296c, v4
	v_fma_f32 v5, v27, s25, -v5
	v_add_f32_e32 v4, v28, v26
	v_add_f32_e32 v26, v9, v7
	v_sub_f32_e32 v7, v7, v9
	v_add_f32_e32 v5, v5, v25
	v_add_f32_e32 v25, v8, v6
	v_sub_f32_e32 v6, v6, v8
	v_mul_f32_e32 v8, 0xbf06c442, v7
	v_fma_f32 v9, v25, s30, -v8
	v_fmac_f32_e32 v8, 0xbf59a7d5, v25
	v_add_f32_e32 v8, v8, v10
	v_mul_f32_e32 v10, 0xbf59a7d5, v26
	v_fmac_f32_e32 v55, 0x3ee437d1, v27
	v_mov_b32_e32 v27, v10
	v_add_f32_e32 v9, v9, v11
	v_fmac_f32_e32 v10, 0xbf06c442, v6
	v_mul_f32_e32 v11, 0x3f65296c, v7
	v_fmac_f32_e32 v27, 0x3f06c442, v6
	v_add_f32_e32 v10, v10, v29
	v_fma_f32 v28, v25, s25, -v11
	v_fmac_f32_e32 v11, 0x3ee437d1, v25
	v_mul_f32_e32 v29, 0x3ee437d1, v26
	v_add_f32_e32 v27, v27, v30
	v_add_f32_e32 v11, v11, v31
	v_mov_b32_e32 v30, v29
	v_fmac_f32_e32 v29, 0x3f65296c, v6
	v_mul_f32_e32 v31, 0xbf7ee86f, v7
	v_fmac_f32_e32 v30, 0xbf65296c, v6
	v_add_f32_e32 v28, v28, v32
	v_add_f32_e32 v29, v29, v33
	v_fma_f32 v32, v25, s24, -v31
	v_fmac_f32_e32 v31, 0x3dbcf732, v25
	v_mul_f32_e32 v33, 0x3dbcf732, v26
	v_add_f32_e32 v30, v30, v34
	v_add_f32_e32 v31, v31, v35
	v_mov_b32_e32 v34, v33
	v_fmac_f32_e32 v33, 0xbf7ee86f, v6
	v_mul_f32_e32 v35, 0x3f4c4adb, v7
	v_fmac_f32_e32 v34, 0x3f7ee86f, v6
	v_add_f32_e32 v32, v32, v36
	;; [unrolled: 11-line block ×3, first 2 shown]
	v_add_f32_e32 v37, v37, v41
	v_fma_f32 v40, v25, s28, -v39
	v_fmac_f32_e32 v39, 0x3f6eb680, v25
	v_mul_f32_e32 v41, 0x3f6eb680, v26
	v_add_f32_e32 v38, v38, v42
	v_add_f32_e32 v39, v39, v43
	v_mov_b32_e32 v42, v41
	v_fmac_f32_e32 v41, 0xbeb8f4ab, v6
	v_mul_f32_e32 v43, 0xbe3c28d5, v7
	v_add_f32_e32 v70, v70, v74
	v_add_f32_e32 v71, v71, v75
	;; [unrolled: 1-line block ×3, first 2 shown]
	v_fmac_f32_e32 v42, 0x3eb8f4ab, v6
	v_add_f32_e32 v40, v40, v44
	v_add_f32_e32 v41, v41, v45
	v_fma_f32 v44, v25, s31, -v43
	v_fmac_f32_e32 v43, 0xbf7ba420, v25
	v_mul_f32_e32 v45, 0xbf7ba420, v26
	v_add_f32_e32 v69, v69, v73
	v_add_f32_e32 v66, v66, v70
	;; [unrolled: 1-line block ×6, first 2 shown]
	v_mov_b32_e32 v46, v45
	v_fmac_f32_e32 v45, 0xbe3c28d5, v6
	v_mul_f32_e32 v47, 0x3f2c7751, v7
	v_add_f32_e32 v65, v65, v69
	v_add_f32_e32 v62, v62, v66
	;; [unrolled: 1-line block ×4, first 2 shown]
	v_fmac_f32_e32 v46, 0x3e3c28d5, v6
	v_add_f32_e32 v44, v44, v48
	v_add_f32_e32 v45, v45, v49
	v_fma_f32 v48, v25, s26, -v47
	v_fmac_f32_e32 v47, 0x3f3d2fb0, v25
	v_mul_f32_e32 v49, 0x3f3d2fb0, v26
	v_mul_f32_e32 v7, 0xbf763a35, v7
	;; [unrolled: 1-line block ×3, first 2 shown]
	v_add_f32_e32 v61, v61, v65
	v_add_f32_e32 v58, v58, v62
	;; [unrolled: 1-line block ×6, first 2 shown]
	v_mov_b32_e32 v50, v49
	v_add_f32_e32 v48, v48, v52
	v_mov_b32_e32 v51, v7
	v_mov_b32_e32 v52, v26
	v_add_f32_e32 v57, v57, v61
	v_add_f32_e32 v54, v54, v58
	v_add_f32_e32 v55, v55, v59
	v_add_f32_e32 v56, v56, v60
	v_fmac_f32_e32 v50, 0xbf2c7751, v6
	v_fmac_f32_e32 v51, 0xbe8c1d8e, v25
	;; [unrolled: 1-line block ×4, first 2 shown]
	v_sub_f32_e32 v58, v1, v3
	v_add_f32_e32 v53, v53, v57
	v_add_f32_e32 v50, v50, v54
	;; [unrolled: 1-line block ×7, first 2 shown]
	v_sub_f32_e32 v57, v0, v2
	v_mul_f32_e32 v0, 0xbe3c28d5, v58
	v_mul_f32_e32 v4, 0x3eb8f4ab, v58
	v_fmac_f32_e32 v49, 0x3f2c7751, v6
	v_fma_f32 v7, v25, s27, -v7
	v_fma_f32 v2, v55, s31, -v0
	v_fmac_f32_e32 v0, 0xbf7ba420, v55
	v_mul_f32_e32 v3, 0xbf7ba420, v56
	v_fma_f32 v6, v55, s28, -v4
	v_fmac_f32_e32 v4, 0x3f6eb680, v55
	v_add_f32_e32 v49, v49, v53
	v_add_f32_e32 v53, v7, v5
	;; [unrolled: 1-line block ×3, first 2 shown]
	v_mov_b32_e32 v1, v3
	v_fmac_f32_e32 v3, 0xbe3c28d5, v57
	v_add_f32_e32 v4, v4, v11
	v_mul_f32_e32 v7, 0x3f6eb680, v56
	v_mul_f32_e32 v8, 0xbf06c442, v58
	;; [unrolled: 1-line block ×3, first 2 shown]
	v_fmac_f32_e32 v1, 0x3e3c28d5, v57
	v_add_f32_e32 v2, v2, v9
	v_add_f32_e32 v3, v3, v10
	v_mov_b32_e32 v5, v7
	v_fmac_f32_e32 v7, 0x3eb8f4ab, v57
	v_fma_f32 v10, v55, s30, -v8
	v_mov_b32_e32 v9, v11
	v_fmac_f32_e32 v11, 0xbf06c442, v57
	v_mul_f32_e32 v25, 0x3f2c7751, v58
	v_add_f32_e32 v1, v1, v27
	v_fmac_f32_e32 v5, 0xbeb8f4ab, v57
	v_add_f32_e32 v6, v6, v28
	v_add_f32_e32 v7, v7, v29
	v_fmac_f32_e32 v8, 0xbf59a7d5, v55
	v_add_f32_e32 v10, v10, v32
	v_add_f32_e32 v11, v11, v33
	v_fma_f32 v27, v55, s26, -v25
	v_fmac_f32_e32 v25, 0x3f3d2fb0, v55
	v_mul_f32_e32 v28, 0x3f3d2fb0, v56
	v_mul_f32_e32 v29, 0xbf4c4adb, v58
	;; [unrolled: 1-line block ×4, first 2 shown]
	v_add_f32_e32 v5, v5, v30
	v_add_f32_e32 v8, v8, v31
	v_add_f32_e32 v25, v25, v35
	v_mov_b32_e32 v26, v28
	v_fma_f32 v31, v55, s29, -v29
	v_mov_b32_e32 v30, v32
	v_fma_f32 v35, v55, s25, -v33
	v_fmac_f32_e32 v33, 0x3ee437d1, v55
	v_fmac_f32_e32 v9, 0x3f06c442, v57
	;; [unrolled: 1-line block ×3, first 2 shown]
	v_add_f32_e32 v27, v27, v36
	v_fmac_f32_e32 v28, 0x3f2c7751, v57
	v_fmac_f32_e32 v30, 0x3f4c4adb, v57
	v_add_f32_e32 v31, v31, v40
	v_fmac_f32_e32 v32, 0xbf4c4adb, v57
	v_add_f32_e32 v33, v33, v43
	v_mul_f32_e32 v36, 0x3ee437d1, v56
	v_add_f32_e32 v35, v35, v44
	v_mul_f32_e32 v40, 0xbe8c1d8e, v56
	v_mul_f32_e32 v43, 0x3f7ee86f, v58
	;; [unrolled: 1-line block ×3, first 2 shown]
	v_add_f32_e32 v9, v9, v34
	v_add_f32_e32 v26, v26, v38
	;; [unrolled: 1-line block ×3, first 2 shown]
	v_fmac_f32_e32 v29, 0xbf1a4643, v55
	v_add_f32_e32 v30, v30, v42
	v_add_f32_e32 v32, v32, v41
	v_mov_b32_e32 v34, v36
	v_mul_f32_e32 v37, 0xbf763a35, v58
	v_mov_b32_e32 v38, v40
	v_mov_b32_e32 v41, v43
	;; [unrolled: 1-line block ×3, first 2 shown]
	v_add_f32_e32 v29, v29, v39
	v_fmac_f32_e32 v34, 0xbf65296c, v57
	v_fmac_f32_e32 v36, 0x3f65296c, v57
	v_fma_f32 v39, v55, s27, -v37
	v_fmac_f32_e32 v37, 0xbe8c1d8e, v55
	v_fmac_f32_e32 v38, 0x3f763a35, v57
	;; [unrolled: 1-line block ×5, first 2 shown]
	v_fma_f32 v43, v55, s24, -v43
	v_fmac_f32_e32 v44, 0x3f7ee86f, v57
	v_add_f32_e32 v34, v34, v46
	v_add_f32_e32 v36, v36, v45
	;; [unrolled: 1-line block ×10, first 2 shown]
	ds_write2_b64 v22, v[15:16], v[0:1] offset1:1
	ds_write2_b64 v22, v[4:5], v[8:9] offset0:2 offset1:3
	ds_write2_b64 v22, v[25:26], v[29:30] offset0:4 offset1:5
	;; [unrolled: 1-line block ×7, first 2 shown]
	ds_write_b64 v22, v[2:3] offset:128
	s_waitcnt lgkmcnt(0)
	s_barrier
	ds_read2_b64 v[0:3], v22 offset1:1
	ds_read2_b64 v[4:7], v22 offset0:2 offset1:3
	v_mov_b32_e32 v8, v14
	s_waitcnt lgkmcnt(1)
	v_mul_f32_e32 v9, s9, v1
	v_fmac_f32_e32 v9, s8, v0
	v_cvt_f64_f32_e32 v[9:10], v9
	v_mul_f32_e32 v0, s9, v0
	v_fma_f32 v0, s8, v1, -v0
	v_cvt_f64_f32_e32 v[0:1], v0
	v_mad_u64_u32 v[11:12], s[2:3], s3, v12, v[8:9]
	s_mov_b32 s2, 0x1e1e1e1e
	s_mov_b32 s3, 0x3fae1e1e
	v_mul_f64 v[8:9], v[9:10], s[2:3]
	v_mul_f64 v[0:1], v[0:1], s[2:3]
	v_mov_b32_e32 v14, v11
	v_cvt_f32_f64_e32 v8, v[8:9]
	v_mul_f32_e32 v9, s11, v3
	v_fmac_f32_e32 v9, s10, v2
	v_mul_f32_e32 v2, s11, v2
	v_fma_f32 v2, s10, v3, -v2
	v_cvt_f64_f32_e32 v[2:3], v2
	v_cvt_f64_f32_e32 v[10:11], v9
	v_cvt_f32_f64_e32 v9, v[0:1]
	v_lshlrev_b64 v[0:1], 3, v[13:14]
	v_mul_f64 v[2:3], v[2:3], s[2:3]
	v_mul_f64 v[10:11], v[10:11], s[2:3]
	v_mov_b32_e32 v13, s5
	v_add_co_u32_e32 v12, vcc, s4, v0
	v_addc_co_u32_e32 v13, vcc, v13, v1, vcc
	s_lshl_b64 s[4:5], s[0:1], 3
	v_cvt_f32_f64_e32 v1, v[2:3]
	s_waitcnt lgkmcnt(0)
	v_mul_f32_e32 v2, s13, v5
	v_fmac_f32_e32 v2, s12, v4
	v_cvt_f64_f32_e32 v[2:3], v2
	v_cvt_f32_f64_e32 v0, v[10:11]
	v_mul_f32_e32 v10, s15, v7
	v_mul_f32_e32 v4, s13, v4
	v_fmac_f32_e32 v10, s14, v6
	v_mul_f32_e32 v6, s15, v6
	v_fma_f32 v4, s12, v5, -v4
	v_mul_f64 v[2:3], v[2:3], s[2:3]
	v_fma_f32 v6, s14, v7, -v6
	v_cvt_f64_f32_e32 v[4:5], v4
	v_cvt_f64_f32_e32 v[10:11], v10
	;; [unrolled: 1-line block ×3, first 2 shown]
	global_store_dwordx2 v[12:13], v[8:9], off
	v_mul_f64 v[4:5], v[4:5], s[2:3]
	v_mul_f64 v[10:11], v[10:11], s[2:3]
	;; [unrolled: 1-line block ×3, first 2 shown]
	v_mov_b32_e32 v9, s5
	v_add_co_u32_e32 v8, vcc, s4, v12
	v_addc_co_u32_e32 v9, vcc, v13, v9, vcc
	global_store_dwordx2 v[8:9], v[0:1], off
	v_cvt_f32_f64_e32 v8, v[2:3]
	ds_read2_b64 v[0:3], v22 offset0:4 offset1:5
	v_cvt_f32_f64_e32 v9, v[4:5]
	v_cvt_f32_f64_e32 v10, v[10:11]
	;; [unrolled: 1-line block ×3, first 2 shown]
	ds_read2_b64 v[4:7], v22 offset0:6 offset1:7
	s_waitcnt lgkmcnt(1)
	v_mul_f32_e32 v16, s17, v1
	v_fmac_f32_e32 v16, s16, v0
	v_mul_f32_e32 v0, s17, v0
	v_fma_f32 v0, s16, v1, -v0
	v_cvt_f64_f32_e32 v[25:26], v16
	v_cvt_f64_f32_e32 v[0:1], v0
	v_mad_u64_u32 v[14:15], s[6:7], s0, 24, v[12:13]
	v_mul_f64 v[25:26], v[25:26], s[2:3]
	v_mul_f64 v[0:1], v[0:1], s[2:3]
	s_lshl_b64 s[4:5], s[0:1], 4
	v_mad_u64_u32 v[15:16], s[6:7], s1, 24, v[15:16]
	v_mov_b32_e32 v28, s5
	v_add_co_u32_e32 v27, vcc, s4, v12
	v_addc_co_u32_e32 v28, vcc, v13, v28, vcc
	global_store_dwordx2 v[27:28], v[8:9], off
	global_store_dwordx2 v[14:15], v[10:11], off
	v_mul_f32_e32 v10, s19, v3
	v_fmac_f32_e32 v10, s18, v2
	v_mul_f32_e32 v2, s19, v2
	v_fma_f32 v2, s18, v3, -v2
	v_cvt_f32_f64_e32 v8, v[25:26]
	v_cvt_f32_f64_e32 v9, v[0:1]
	v_cvt_f64_f32_e32 v[10:11], v10
	v_cvt_f64_f32_e32 v[2:3], v2
	s_lshl_b64 s[4:5], s[0:1], 5
	v_mov_b32_e32 v1, s5
	v_add_co_u32_e32 v0, vcc, s4, v12
	v_addc_co_u32_e32 v1, vcc, v13, v1, vcc
	global_store_dwordx2 v[0:1], v[8:9], off
	v_mul_f64 v[0:1], v[10:11], s[2:3]
	v_mul_f64 v[2:3], v[2:3], s[2:3]
	s_waitcnt lgkmcnt(0)
	v_mul_f32_e32 v9, s21, v5
	v_mad_u64_u32 v[14:15], s[4:5], s0, 40, v[12:13]
	v_fmac_f32_e32 v9, s20, v4
	v_cvt_f64_f32_e32 v[9:10], v9
	v_mul_f32_e32 v4, s21, v4
	v_fma_f32 v4, s20, v5, -v4
	v_mov_b32_e32 v8, v15
	v_cvt_f64_f32_e32 v[4:5], v4
	v_mad_u64_u32 v[15:16], s[4:5], s1, 40, v[8:9]
	v_cvt_f32_f64_e32 v0, v[0:1]
	v_cvt_f32_f64_e32 v1, v[2:3]
	v_mul_f64 v[8:9], v[9:10], s[2:3]
	v_mul_f64 v[4:5], v[4:5], s[2:3]
	v_mad_u64_u32 v[10:11], s[4:5], s0, 48, v[12:13]
	global_store_dwordx2 v[14:15], v[0:1], off
	v_mul_f32_e32 v1, s23, v7
	v_fmac_f32_e32 v1, s22, v6
	v_cvt_f64_f32_e32 v[1:2], v1
	v_mov_b32_e32 v0, v11
	v_mul_f32_e32 v3, s23, v6
	v_fma_f32 v3, s22, v7, -v3
	v_mad_u64_u32 v[14:15], s[4:5], s1, 48, v[0:1]
	v_cvt_f32_f64_e32 v8, v[8:9]
	v_cvt_f32_f64_e32 v9, v[4:5]
	v_cvt_f64_f32_e32 v[4:5], v3
	v_mul_f64 v[15:16], v[1:2], s[2:3]
	ds_read2_b64 v[0:3], v22 offset0:8 offset1:9
	v_mad_u64_u32 v[27:28], s[4:5], s0, 56, v[12:13]
	v_mul_f64 v[25:26], v[4:5], s[2:3]
	ds_read2_b64 v[4:7], v22 offset0:10 offset1:11
	s_waitcnt lgkmcnt(1)
	v_mul_f32_e32 v11, s37, v1
	v_fmac_f32_e32 v11, s36, v0
	v_mul_f32_e32 v0, s37, v0
	v_fma_f32 v0, s36, v1, -v0
	v_cvt_f64_f32_e32 v[0:1], v0
	v_cvt_f64_f32_e32 v[29:30], v11
	v_mov_b32_e32 v11, v28
	v_mad_u64_u32 v[31:32], s[4:5], s1, 56, v[11:12]
	v_mul_f64 v[0:1], v[0:1], s[2:3]
	v_mov_b32_e32 v11, v14
	global_store_dwordx2 v[10:11], v[8:9], off
	s_waitcnt lgkmcnt(0)
	v_mul_f32_e32 v10, s41, v5
	v_mul_f64 v[29:30], v[29:30], s[2:3]
	v_fmac_f32_e32 v10, s40, v4
	v_mul_f32_e32 v4, s41, v4
	v_fma_f32 v4, s40, v5, -v4
	v_cvt_f32_f64_e32 v9, v[0:1]
	v_mul_f32_e32 v0, s39, v3
	v_fmac_f32_e32 v0, s38, v2
	v_mul_f32_e32 v2, s39, v2
	v_fma_f32 v2, s38, v3, -v2
	v_cvt_f64_f32_e32 v[0:1], v0
	v_cvt_f64_f32_e32 v[2:3], v2
	;; [unrolled: 1-line block ×3, first 2 shown]
	v_cvt_f32_f64_e32 v15, v[15:16]
	v_mul_f64 v[0:1], v[0:1], s[2:3]
	v_mul_f64 v[2:3], v[2:3], s[2:3]
	v_cvt_f32_f64_e32 v16, v[25:26]
	v_mov_b32_e32 v28, v31
	s_lshl_b64 s[4:5], s[0:1], 6
	v_mul_f64 v[4:5], v[4:5], s[2:3]
	global_store_dwordx2 v[27:28], v[15:16], off
	v_mov_b32_e32 v15, s5
	v_add_co_u32_e32 v14, vcc, s4, v12
	v_mad_u64_u32 v[25:26], s[4:5], s0, v23, v[12:13]
	v_cvt_f32_f64_e32 v8, v[29:30]
	v_cvt_f32_f64_e32 v0, v[0:1]
	v_cvt_f32_f64_e32 v1, v[2:3]
	v_cvt_f64_f32_e32 v[10:11], v10
	s_mul_i32 s4, s1, 0x48
	v_addc_co_u32_e32 v15, vcc, v13, v15, vcc
	v_add_u32_e32 v26, s4, v26
	global_store_dwordx2 v[14:15], v[8:9], off
	global_store_dwordx2 v[25:26], v[0:1], off
	v_mul_f32_e32 v0, s43, v7
	v_mul_f64 v[10:11], v[10:11], s[2:3]
	v_fmac_f32_e32 v0, s42, v6
	v_cvt_f32_f64_e32 v9, v[4:5]
	v_cvt_f64_f32_e32 v[4:5], v0
	v_mul_f32_e32 v0, s43, v6
	v_fma_f32 v0, s42, v7, -v0
	v_cvt_f64_f32_e32 v[6:7], v0
	ds_read2_b64 v[0:3], v22 offset0:12 offset1:13
	v_cvt_f32_f64_e32 v8, v[10:11]
	v_mad_u64_u32 v[10:11], s[4:5], s0, v24, v[12:13]
	v_mul_f64 v[14:15], v[4:5], s[2:3]
	v_mul_f64 v[23:24], v[6:7], s[2:3]
	ds_read2_b64 v[4:7], v22 offset0:14 offset1:15
	s_waitcnt lgkmcnt(1)
	v_mul_f32_e32 v16, s45, v1
	v_fmac_f32_e32 v16, s44, v0
	v_mul_f32_e32 v0, s45, v0
	v_fma_f32 v0, s44, v1, -v0
	v_cvt_f64_f32_e32 v[0:1], v0
	s_mul_i32 s4, s1, 0x50
	v_add_u32_e32 v11, s4, v11
	v_mad_u64_u32 v[27:28], s[4:5], s0, v19, v[12:13]
	v_mul_f64 v[0:1], v[0:1], s[2:3]
	v_cvt_f32_f64_e32 v14, v[14:15]
	v_cvt_f32_f64_e32 v15, v[23:24]
	global_store_dwordx2 v[10:11], v[8:9], off
	s_mul_i32 s4, s1, 0x58
	v_cvt_f64_f32_e32 v[25:26], v16
	v_add_u32_e32 v28, s4, v28
	global_store_dwordx2 v[27:28], v[14:15], off
	v_cvt_f32_f64_e32 v9, v[0:1]
	v_mul_f32_e32 v0, s47, v3
	v_fmac_f32_e32 v0, s46, v2
	v_mul_f32_e32 v2, s47, v2
	v_fma_f32 v2, s46, v3, -v2
	v_cvt_f64_f32_e32 v[0:1], v0
	v_cvt_f64_f32_e32 v[2:3], v2
	s_waitcnt lgkmcnt(0)
	v_mul_f32_e32 v14, s49, v5
	v_fmac_f32_e32 v14, s48, v4
	v_mul_f32_e32 v4, s49, v4
	v_fma_f32 v4, s48, v5, -v4
	v_mul_f64 v[25:26], v[25:26], s[2:3]
	v_mul_f64 v[0:1], v[0:1], s[2:3]
	;; [unrolled: 1-line block ×3, first 2 shown]
	v_cvt_f64_f32_e32 v[4:5], v4
	v_mad_u64_u32 v[10:11], s[4:5], s0, v21, v[12:13]
	s_mul_i32 s4, s1, 0x60
	v_mul_f64 v[4:5], v[4:5], s[2:3]
	v_add_u32_e32 v11, s4, v11
	v_mad_u64_u32 v[19:20], s[4:5], s0, v20, v[12:13]
	v_cvt_f32_f64_e32 v8, v[25:26]
	v_cvt_f32_f64_e32 v0, v[0:1]
	;; [unrolled: 1-line block ×3, first 2 shown]
	s_mul_i32 s4, s1, 0x68
	v_add_u32_e32 v20, s4, v20
	global_store_dwordx2 v[10:11], v[8:9], off
	global_store_dwordx2 v[19:20], v[0:1], off
	v_cvt_f32_f64_e32 v1, v[4:5]
	v_mul_f32_e32 v2, s51, v7
	v_mul_f32_e32 v4, s51, v6
	v_fmac_f32_e32 v2, s50, v6
	v_fma_f32 v4, s50, v7, -v4
	ds_read_b64 v[6:7], v22 offset:128
	v_cvt_f64_f32_e32 v[14:15], v14
	v_cvt_f64_f32_e32 v[2:3], v2
	v_cvt_f64_f32_e32 v[4:5], v4
	v_mad_u64_u32 v[8:9], s[4:5], s0, v18, v[12:13]
	s_waitcnt lgkmcnt(0)
	v_mul_f32_e32 v10, s53, v7
	v_fmac_f32_e32 v10, s52, v6
	v_mul_f32_e32 v6, s53, v6
	v_fma_f32 v6, s52, v7, -v6
	v_mul_f64 v[14:15], v[14:15], s[2:3]
	v_cvt_f64_f32_e32 v[10:11], v10
	v_cvt_f64_f32_e32 v[6:7], v6
	v_mul_f64 v[2:3], v[2:3], s[2:3]
	v_mul_f64 v[4:5], v[4:5], s[2:3]
	;; [unrolled: 1-line block ×4, first 2 shown]
	s_mul_i32 s4, s1, 0x70
	v_cvt_f32_f64_e32 v0, v[14:15]
	v_mad_u64_u32 v[14:15], s[2:3], s0, v17, v[12:13]
	v_cvt_f32_f64_e32 v2, v[2:3]
	v_cvt_f32_f64_e32 v3, v[4:5]
	v_add_u32_e32 v9, s4, v9
	global_store_dwordx2 v[8:9], v[0:1], off
	s_mul_i32 s2, s1, 0x78
	v_cvt_f32_f64_e32 v0, v[10:11]
	v_cvt_f32_f64_e32 v1, v[6:7]
	v_add_u32_e32 v15, s2, v15
	s_lshl_b64 s[0:1], s[0:1], 7
	global_store_dwordx2 v[14:15], v[2:3], off
	v_mov_b32_e32 v3, s1
	v_add_co_u32_e32 v2, vcc, s0, v12
	v_addc_co_u32_e32 v3, vcc, v13, v3, vcc
	global_store_dwordx2 v[2:3], v[0:1], off
.LBB0_2:
	s_endpgm
	.section	.rodata,"a",@progbits
	.p2align	6, 0x0
	.amdhsa_kernel bluestein_single_fwd_len17_dim1_sp_op_CI_CI
		.amdhsa_group_segment_fixed_size 16320
		.amdhsa_private_segment_fixed_size 0
		.amdhsa_kernarg_size 104
		.amdhsa_user_sgpr_count 6
		.amdhsa_user_sgpr_private_segment_buffer 1
		.amdhsa_user_sgpr_dispatch_ptr 0
		.amdhsa_user_sgpr_queue_ptr 0
		.amdhsa_user_sgpr_kernarg_segment_ptr 1
		.amdhsa_user_sgpr_dispatch_id 0
		.amdhsa_user_sgpr_flat_scratch_init 0
		.amdhsa_user_sgpr_private_segment_size 0
		.amdhsa_uses_dynamic_stack 0
		.amdhsa_system_sgpr_private_segment_wavefront_offset 0
		.amdhsa_system_sgpr_workgroup_id_x 1
		.amdhsa_system_sgpr_workgroup_id_y 0
		.amdhsa_system_sgpr_workgroup_id_z 0
		.amdhsa_system_sgpr_workgroup_info 0
		.amdhsa_system_vgpr_workitem_id 0
		.amdhsa_next_free_vgpr 77
		.amdhsa_next_free_sgpr 84
		.amdhsa_reserve_vcc 1
		.amdhsa_reserve_flat_scratch 0
		.amdhsa_float_round_mode_32 0
		.amdhsa_float_round_mode_16_64 0
		.amdhsa_float_denorm_mode_32 3
		.amdhsa_float_denorm_mode_16_64 3
		.amdhsa_dx10_clamp 1
		.amdhsa_ieee_mode 1
		.amdhsa_fp16_overflow 0
		.amdhsa_exception_fp_ieee_invalid_op 0
		.amdhsa_exception_fp_denorm_src 0
		.amdhsa_exception_fp_ieee_div_zero 0
		.amdhsa_exception_fp_ieee_overflow 0
		.amdhsa_exception_fp_ieee_underflow 0
		.amdhsa_exception_fp_ieee_inexact 0
		.amdhsa_exception_int_div_zero 0
	.end_amdhsa_kernel
	.text
.Lfunc_end0:
	.size	bluestein_single_fwd_len17_dim1_sp_op_CI_CI, .Lfunc_end0-bluestein_single_fwd_len17_dim1_sp_op_CI_CI
                                        ; -- End function
	.section	.AMDGPU.csdata,"",@progbits
; Kernel info:
; codeLenInByte = 12664
; NumSgprs: 88
; NumVgprs: 77
; ScratchSize: 0
; MemoryBound: 0
; FloatMode: 240
; IeeeMode: 1
; LDSByteSize: 16320 bytes/workgroup (compile time only)
; SGPRBlocks: 10
; VGPRBlocks: 19
; NumSGPRsForWavesPerEU: 88
; NumVGPRsForWavesPerEU: 77
; Occupancy: 2
; WaveLimiterHint : 1
; COMPUTE_PGM_RSRC2:SCRATCH_EN: 0
; COMPUTE_PGM_RSRC2:USER_SGPR: 6
; COMPUTE_PGM_RSRC2:TRAP_HANDLER: 0
; COMPUTE_PGM_RSRC2:TGID_X_EN: 1
; COMPUTE_PGM_RSRC2:TGID_Y_EN: 0
; COMPUTE_PGM_RSRC2:TGID_Z_EN: 0
; COMPUTE_PGM_RSRC2:TIDIG_COMP_CNT: 0
	.type	__hip_cuid_934f4999588a2627,@object ; @__hip_cuid_934f4999588a2627
	.section	.bss,"aw",@nobits
	.globl	__hip_cuid_934f4999588a2627
__hip_cuid_934f4999588a2627:
	.byte	0                               ; 0x0
	.size	__hip_cuid_934f4999588a2627, 1

	.ident	"AMD clang version 19.0.0git (https://github.com/RadeonOpenCompute/llvm-project roc-6.4.0 25133 c7fe45cf4b819c5991fe208aaa96edf142730f1d)"
	.section	".note.GNU-stack","",@progbits
	.addrsig
	.addrsig_sym __hip_cuid_934f4999588a2627
	.amdgpu_metadata
---
amdhsa.kernels:
  - .args:
      - .actual_access:  read_only
        .address_space:  global
        .offset:         0
        .size:           8
        .value_kind:     global_buffer
      - .actual_access:  read_only
        .address_space:  global
        .offset:         8
        .size:           8
        .value_kind:     global_buffer
      - .actual_access:  read_only
        .address_space:  global
        .offset:         16
        .size:           8
        .value_kind:     global_buffer
      - .actual_access:  read_only
        .address_space:  global
        .offset:         24
        .size:           8
        .value_kind:     global_buffer
      - .actual_access:  read_only
        .address_space:  global
        .offset:         32
        .size:           8
        .value_kind:     global_buffer
      - .offset:         40
        .size:           8
        .value_kind:     by_value
      - .address_space:  global
        .offset:         48
        .size:           8
        .value_kind:     global_buffer
      - .address_space:  global
        .offset:         56
        .size:           8
        .value_kind:     global_buffer
      - .address_space:  global
        .offset:         64
        .size:           8
        .value_kind:     global_buffer
      - .address_space:  global
        .offset:         72
        .size:           8
        .value_kind:     global_buffer
      - .offset:         80
        .size:           4
        .value_kind:     by_value
      - .address_space:  global
        .offset:         88
        .size:           8
        .value_kind:     global_buffer
      - .address_space:  global
        .offset:         96
        .size:           8
        .value_kind:     global_buffer
    .group_segment_fixed_size: 16320
    .kernarg_segment_align: 8
    .kernarg_segment_size: 104
    .language:       OpenCL C
    .language_version:
      - 2
      - 0
    .max_flat_workgroup_size: 120
    .name:           bluestein_single_fwd_len17_dim1_sp_op_CI_CI
    .private_segment_fixed_size: 0
    .sgpr_count:     88
    .sgpr_spill_count: 0
    .symbol:         bluestein_single_fwd_len17_dim1_sp_op_CI_CI.kd
    .uniform_work_group_size: 1
    .uses_dynamic_stack: false
    .vgpr_count:     77
    .vgpr_spill_count: 0
    .wavefront_size: 64
amdhsa.target:   amdgcn-amd-amdhsa--gfx906
amdhsa.version:
  - 1
  - 2
...

	.end_amdgpu_metadata
